;; amdgpu-corpus repo=ROCm/rocFFT kind=compiled arch=gfx1201 opt=O3
	.text
	.amdgcn_target "amdgcn-amd-amdhsa--gfx1201"
	.amdhsa_code_object_version 6
	.protected	bluestein_single_fwd_len1890_dim1_half_op_CI_CI ; -- Begin function bluestein_single_fwd_len1890_dim1_half_op_CI_CI
	.globl	bluestein_single_fwd_len1890_dim1_half_op_CI_CI
	.p2align	8
	.type	bluestein_single_fwd_len1890_dim1_half_op_CI_CI,@function
bluestein_single_fwd_len1890_dim1_half_op_CI_CI: ; @bluestein_single_fwd_len1890_dim1_half_op_CI_CI
; %bb.0:
	s_load_b128 s[8:11], s[0:1], 0x28
	v_mul_u32_u24_e32 v1, 0x209, v0
	s_mov_b32 s2, exec_lo
	v_mov_b32_e32 v27, 0
	s_delay_alu instid0(VALU_DEP_2) | instskip(NEXT) | instid1(VALU_DEP_1)
	v_lshrrev_b32_e32 v1, 16, v1
	v_add_nc_u32_e32 v26, ttmp9, v1
	s_wait_kmcnt 0x0
	s_delay_alu instid0(VALU_DEP_1)
	v_cmpx_gt_u64_e64 s[8:9], v[26:27]
	s_cbranch_execz .LBB0_23
; %bb.1:
	s_clause 0x1
	s_load_b128 s[4:7], s[0:1], 0x18
	s_load_b64 s[16:17], s[0:1], 0x0
	v_mul_lo_u16 v1, 0x7e, v1
	s_movk_i32 s2, 0xfccd
	s_mov_b32 s3, -1
	s_delay_alu instid0(VALU_DEP_1) | instskip(NEXT) | instid1(VALU_DEP_1)
	v_sub_nc_u16 v7, v0, v1
	v_and_b32_e32 v90, 0xffff, v7
	s_wait_kmcnt 0x0
	s_load_b128 s[12:15], s[4:5], 0x0
	s_wait_kmcnt 0x0
	v_mad_co_u64_u32 v[0:1], null, s14, v26, 0
	v_mad_co_u64_u32 v[2:3], null, s12, v90, 0
	s_mul_u64 s[4:5], s[12:13], 0x3b1
	s_mul_u64 s[2:3], s[12:13], s[2:3]
	s_delay_alu instid0(SALU_CYCLE_1) | instskip(NEXT) | instid1(VALU_DEP_1)
	s_lshl_b64 s[2:3], s[2:3], 2
	v_mad_co_u64_u32 v[4:5], null, s15, v26, v[1:2]
	s_delay_alu instid0(VALU_DEP_2)
	v_mov_b32_e32 v1, v3
	v_lshlrev_b32_e32 v69, 2, v90
	s_clause 0x7
	global_load_b32 v95, v69, s[16:17]
	global_load_b32 v92, v69, s[16:17] offset:504
	global_load_b32 v87, v69, s[16:17] offset:1008
	;; [unrolled: 1-line block ×7, first 2 shown]
	v_mad_co_u64_u32 v[5:6], null, s13, v90, v[1:2]
	v_dual_mov_b32 v1, v4 :: v_dual_add_nc_u32 v4, 0x1000, v69
	s_clause 0x5
	global_load_b32 v91, v69, s[16:17] offset:4284
	global_load_b32 v86, v69, s[16:17] offset:4788
	;; [unrolled: 1-line block ×6, first 2 shown]
	v_add_co_u32 v24, s12, s16, v69
	v_lshlrev_b64_e32 v[0:1], 2, v[0:1]
	v_mov_b32_e32 v3, v5
	s_wait_alu 0xf1ff
	v_add_co_ci_u32_e64 v25, null, s17, 0, s12
	v_add_nc_u32_e32 v8, 0x1400, v69
	s_delay_alu instid0(VALU_DEP_3) | instskip(SKIP_3) | instid1(VALU_DEP_2)
	v_lshlrev_b64_e32 v[2:3], 2, v[2:3]
	v_add_co_u32 v0, vcc_lo, s10, v0
	v_add_co_ci_u32_e32 v1, vcc_lo, s11, v1, vcc_lo
	s_lshl_b64 s[10:11], s[4:5], 2
	v_add_co_u32 v0, vcc_lo, v0, v2
	s_wait_alu 0xfffd
	s_delay_alu instid0(VALU_DEP_2) | instskip(SKIP_1) | instid1(VALU_DEP_2)
	v_add_co_ci_u32_e32 v1, vcc_lo, v1, v3, vcc_lo
	s_wait_alu 0xfffe
	v_add_co_u32 v2, vcc_lo, v0, s10
	s_wait_alu 0xfffd
	s_delay_alu instid0(VALU_DEP_2)
	v_add_co_ci_u32_e32 v3, vcc_lo, s11, v1, vcc_lo
	s_clause 0x1
	global_load_b32 v5, v[0:1], off
	global_load_b32 v6, v[2:3], off
	v_add_co_u32 v0, vcc_lo, v2, s2
	s_wait_alu 0xfffd
	v_add_co_ci_u32_e32 v1, vcc_lo, s3, v3, vcc_lo
	s_delay_alu instid0(VALU_DEP_2) | instskip(SKIP_1) | instid1(VALU_DEP_2)
	v_add_co_u32 v2, vcc_lo, v0, s10
	s_wait_alu 0xfffd
	v_add_co_ci_u32_e32 v3, vcc_lo, s11, v1, vcc_lo
	s_clause 0x1
	global_load_b32 v9, v[0:1], off
	global_load_b32 v10, v[2:3], off
	v_add_co_u32 v0, vcc_lo, v2, s2
	s_wait_alu 0xfffd
	v_add_co_ci_u32_e32 v1, vcc_lo, s3, v3, vcc_lo
	s_delay_alu instid0(VALU_DEP_2) | instskip(SKIP_1) | instid1(VALU_DEP_2)
	v_add_co_u32 v2, vcc_lo, v0, s10
	s_wait_alu 0xfffd
	v_add_co_ci_u32_e32 v3, vcc_lo, s11, v1, vcc_lo
	global_load_b32 v11, v[0:1], off
	global_load_b32 v12, v[2:3], off
	v_add_co_u32 v0, vcc_lo, v2, s2
	s_wait_alu 0xfffd
	v_add_co_ci_u32_e32 v1, vcc_lo, s3, v3, vcc_lo
	s_delay_alu instid0(VALU_DEP_2) | instskip(SKIP_1) | instid1(VALU_DEP_2)
	v_add_co_u32 v2, vcc_lo, v0, s10
	s_wait_alu 0xfffd
	v_add_co_ci_u32_e32 v3, vcc_lo, s11, v1, vcc_lo
	global_load_b32 v13, v[0:1], off
	v_add_co_u32 v0, vcc_lo, v2, s2
	s_wait_alu 0xfffd
	v_add_co_ci_u32_e32 v1, vcc_lo, s3, v3, vcc_lo
	global_load_b32 v14, v[2:3], off
	global_load_b32 v15, v[0:1], off
	v_add_co_u32 v0, vcc_lo, v0, s10
	s_wait_alu 0xfffd
	v_add_co_ci_u32_e32 v1, vcc_lo, s11, v1, vcc_lo
	s_delay_alu instid0(VALU_DEP_2) | instskip(SKIP_1) | instid1(VALU_DEP_2)
	v_add_co_u32 v2, vcc_lo, v0, s2
	s_wait_alu 0xfffd
	v_add_co_ci_u32_e32 v3, vcc_lo, s3, v1, vcc_lo
	global_load_b32 v16, v[0:1], off
	v_add_co_u32 v0, vcc_lo, v2, s10
	s_wait_alu 0xfffd
	v_add_co_ci_u32_e32 v1, vcc_lo, s11, v3, vcc_lo
	global_load_b32 v17, v[2:3], off
	v_add_co_u32 v2, vcc_lo, v0, s2
	s_wait_alu 0xfffd
	v_add_co_ci_u32_e32 v3, vcc_lo, s3, v1, vcc_lo
	global_load_b32 v18, v[0:1], off
	v_add_co_u32 v0, vcc_lo, v2, s10
	s_wait_alu 0xfffd
	v_add_co_ci_u32_e32 v1, vcc_lo, s11, v3, vcc_lo
	global_load_b32 v19, v[2:3], off
	global_load_b32 v20, v[0:1], off
	s_load_b64 s[8:9], s[0:1], 0x38
	s_load_b128 s[4:7], s[6:7], 0x0
	v_add_nc_u32_e32 v2, 0x200, v69
	v_add_nc_u32_e32 v3, 0x600, v69
	v_cmp_gt_u16_e32 vcc_lo, 63, v7
	s_wait_loadcnt 0x1b
	v_lshrrev_b32_e32 v98, 16, v95
	s_wait_loadcnt 0x1a
	v_lshrrev_b32_e32 v94, 16, v92
	;; [unrolled: 2-line block ×12, first 2 shown]
	v_lshrrev_b32_e32 v73, 16, v72
	s_wait_loadcnt 0xe
	v_lshrrev_b32_e32 v71, 16, v70
	s_wait_loadcnt 0xd
	v_lshrrev_b32_e32 v21, 16, v5
	v_mul_f16_e32 v22, v98, v5
	s_wait_loadcnt 0xc
	v_lshrrev_b32_e32 v27, 16, v6
	v_mul_f16_e32 v28, v97, v6
	v_mul_f16_e32 v23, v98, v21
	v_fma_f16 v21, v95, v21, -v22
	s_delay_alu instid0(VALU_DEP_2)
	v_fmac_f16_e32 v23, v95, v5
	v_mul_f16_e32 v5, v97, v27
	v_fma_f16 v27, v96, v27, -v28
	s_wait_loadcnt 0xb
	v_lshrrev_b32_e32 v22, 16, v9
	v_mul_f16_e32 v28, v94, v9
	v_pack_b32_f16 v21, v23, v21
	v_fmac_f16_e32 v5, v96, v6
	s_wait_loadcnt 0xa
	v_lshrrev_b32_e32 v23, 16, v10
	v_mul_f16_e32 v6, v94, v22
	v_mul_f16_e32 v29, v93, v10
	v_fma_f16 v22, v92, v22, -v28
	v_pack_b32_f16 v5, v5, v27
	s_delay_alu instid0(VALU_DEP_4)
	v_fmac_f16_e32 v6, v92, v9
	v_mul_f16_e32 v9, v93, v23
	s_wait_loadcnt 0x9
	v_lshrrev_b32_e32 v27, 16, v11
	v_fma_f16 v23, v91, v23, -v29
	v_mul_f16_e32 v28, v89, v11
	ds_store_b32 v69, v5 offset:3780
	v_pack_b32_f16 v5, v6, v22
	v_fmac_f16_e32 v9, v91, v10
	v_mul_f16_e32 v6, v89, v27
	s_wait_loadcnt 0x8
	v_lshrrev_b32_e32 v22, 16, v12
	v_fma_f16 v10, v87, v27, -v28
	v_mul_f16_e32 v27, v88, v12
	ds_store_2addr_b32 v69, v21, v5 offset1:126
	v_pack_b32_f16 v5, v9, v23
	v_fmac_f16_e32 v6, v87, v11
	v_mul_f16_e32 v9, v88, v22
	s_wait_loadcnt 0x7
	v_lshrrev_b32_e32 v11, 16, v13
	v_fma_f16 v21, v86, v22, -v27
	v_mul_f16_e32 v22, v85, v13
	v_pack_b32_f16 v6, v6, v10
	v_fmac_f16_e32 v9, v86, v12
	v_mul_f16_e32 v10, v85, v11
	s_wait_loadcnt 0x6
	v_lshrrev_b32_e32 v12, 16, v14
	v_fma_f16 v11, v83, v11, -v22
	v_mul_f16_e32 v23, v84, v14
	v_pack_b32_f16 v9, v9, v21
	v_fmac_f16_e32 v10, v83, v13
	s_wait_loadcnt 0x5
	v_lshrrev_b32_e32 v21, 16, v15
	v_mul_f16_e32 v13, v84, v12
	v_mul_f16_e32 v22, v81, v15
	ds_store_2addr_b32 v4, v5, v9 offset0:47 offset1:173
	v_pack_b32_f16 v5, v10, v11
	v_mul_f16_e32 v9, v81, v21
	v_fma_f16 v12, v82, v12, -v23
	v_fmac_f16_e32 v13, v82, v14
	v_fma_f16 v10, v80, v21, -v22
	ds_store_2addr_b32 v2, v6, v5 offset0:124 offset1:250
	v_fmac_f16_e32 v9, v80, v15
	s_wait_loadcnt 0x3
	v_lshrrev_b32_e32 v6, 16, v17
	v_lshrrev_b32_e32 v11, 16, v16
	v_mul_f16_e32 v14, v79, v16
	v_pack_b32_f16 v5, v13, v12
	v_mul_f16_e32 v13, v77, v17
	v_pack_b32_f16 v10, v9, v10
	v_mul_f16_e32 v9, v77, v6
	v_mul_f16_e32 v12, v79, v11
	v_fma_f16 v11, v78, v11, -v14
	s_wait_loadcnt 0x2
	v_lshrrev_b32_e32 v14, 16, v18
	v_fma_f16 v6, v76, v6, -v13
	v_mul_f16_e32 v13, v75, v18
	s_wait_loadcnt 0x1
	v_lshrrev_b32_e32 v15, 16, v19
	v_fmac_f16_e32 v9, v76, v17
	s_wait_loadcnt 0x0
	v_lshrrev_b32_e32 v17, 16, v20
	v_fmac_f16_e32 v12, v78, v16
	v_mul_f16_e32 v16, v75, v14
	v_fma_f16 v13, v74, v14, -v13
	v_mul_f16_e32 v14, v73, v19
	v_mul_f16_e32 v21, v73, v15
	;; [unrolled: 1-line block ×4, first 2 shown]
	v_fmac_f16_e32 v16, v74, v18
	v_fma_f16 v14, v72, v15, -v14
	v_fmac_f16_e32 v21, v72, v19
	v_fma_f16 v15, v70, v17, -v22
	v_fmac_f16_e32 v23, v70, v20
	v_pack_b32_f16 v11, v12, v11
	v_pack_b32_f16 v6, v9, v6
	v_add_nc_u32_e32 v9, 0x1800, v69
	v_pack_b32_f16 v12, v16, v13
	v_pack_b32_f16 v13, v21, v14
	;; [unrolled: 1-line block ×3, first 2 shown]
	ds_store_2addr_b32 v8, v5, v11 offset0:43 offset1:169
	ds_store_2addr_b32 v3, v10, v6 offset0:120 offset1:246
	ds_store_b32 v69, v13 offset:3024
	ds_store_2addr_b32 v9, v12, v14 offset0:39 offset1:165
	s_and_saveexec_b32 s12, vcc_lo
	s_cbranch_execz .LBB0_3
; %bb.2:
	v_add_co_u32 v0, s2, v0, s2
	s_wait_alu 0xf1ff
	v_add_co_ci_u32_e64 v1, s2, s3, v1, s2
	s_delay_alu instid0(VALU_DEP_2) | instskip(SKIP_1) | instid1(VALU_DEP_2)
	v_add_co_u32 v5, s2, v0, s10
	s_wait_alu 0xf1ff
	v_add_co_ci_u32_e64 v6, s2, s11, v1, s2
	s_clause 0x1
	global_load_b32 v7, v[24:25], off offset:3528
	global_load_b32 v10, v[24:25], off offset:7308
	global_load_b32 v0, v[0:1], off
	global_load_b32 v1, v[5:6], off
	s_wait_loadcnt 0x3
	v_lshrrev_b32_e32 v5, 16, v7
	s_wait_loadcnt 0x2
	v_lshrrev_b32_e32 v6, 16, v10
	;; [unrolled: 2-line block ×4, first 2 shown]
	v_mul_f16_e32 v13, v5, v0
	s_delay_alu instid0(VALU_DEP_3) | instskip(NEXT) | instid1(VALU_DEP_3)
	v_mul_f16_e32 v5, v5, v11
	v_mul_f16_e32 v14, v6, v12
	;; [unrolled: 1-line block ×3, first 2 shown]
	s_delay_alu instid0(VALU_DEP_4) | instskip(NEXT) | instid1(VALU_DEP_4)
	v_fma_f16 v11, v7, v11, -v13
	v_fmac_f16_e32 v5, v7, v0
	s_delay_alu instid0(VALU_DEP_4) | instskip(NEXT) | instid1(VALU_DEP_4)
	v_fmac_f16_e32 v14, v10, v1
	v_fma_f16 v0, v10, v12, -v6
	s_delay_alu instid0(VALU_DEP_3) | instskip(NEXT) | instid1(VALU_DEP_2)
	v_pack_b32_f16 v1, v5, v11
	v_pack_b32_f16 v0, v14, v0
	ds_store_b32 v69, v1 offset:3528
	ds_store_b32 v69, v0 offset:7308
.LBB0_3:
	s_wait_alu 0xfffe
	s_or_b32 exec_lo, exec_lo, s12
	v_add_nc_u32_e32 v0, 0xb00, v69
	global_wb scope:SCOPE_SE
	s_wait_dscnt 0x0
	s_wait_kmcnt 0x0
	s_barrier_signal -1
	s_barrier_wait -1
	global_inv scope:SCOPE_SE
	ds_load_2addr_b32 v[6:7], v69 offset1:126
	ds_load_2addr_b32 v[0:1], v0 offset0:52 offset1:241
	ds_load_2addr_b32 v[10:11], v4 offset0:47 offset1:173
	;; [unrolled: 1-line block ×6, first 2 shown]
	s_load_b64 s[2:3], s[0:1], 0x8
                                        ; implicit-def: $vgpr16
                                        ; implicit-def: $vgpr17
	s_and_saveexec_b32 s0, vcc_lo
	s_cbranch_execz .LBB0_5
; %bb.4:
	ds_load_b32 v16, v69 offset:3528
	ds_load_b32 v17, v69 offset:7308
.LBB0_5:
	s_wait_alu 0xfffe
	s_or_b32 exec_lo, exec_lo, s0
	v_add_co_u32 v59, s0, 0x7e, v90
	s_wait_alu 0xf1ff
	v_add_co_ci_u32_e64 v14, null, 0, 0, s0
	v_add_co_u32 v14, s0, 0x17a, v90
	s_wait_alu 0xf1ff
	v_add_co_ci_u32_e64 v15, null, 0, 0, s0
	v_add_co_u32 v15, s0, 0x1f8, v90
	s_wait_alu 0xf1ff
	v_add_co_ci_u32_e64 v18, null, 0, 0, s0
	s_wait_dscnt 0x5
	v_pk_add_f16 v18, v6, v1 neg_lo:[0,1] neg_hi:[0,1]
	v_lshlrev_b16 v1, 1, v90
	s_wait_dscnt 0x1
	v_pk_add_f16 v21, v2, v13 neg_lo:[0,1] neg_hi:[0,1]
	v_pk_add_f16 v10, v7, v10 neg_lo:[0,1] neg_hi:[0,1]
	v_add_co_u32 v60, null, 0xfc, v90
	v_and_b32_e32 v13, 0xffff, v1
	v_add_co_u32 v22, null, 0x372, v90
	v_pk_add_f16 v11, v4, v11 neg_lo:[0,1] neg_hi:[0,1]
	v_pk_add_f16 v19, v5, v12 neg_lo:[0,1] neg_hi:[0,1]
	s_wait_dscnt 0x0
	v_pk_add_f16 v12, v16, v17 neg_lo:[0,1] neg_hi:[0,1]
	v_lshlrev_b32_e32 v102, 2, v13
	v_pk_fma_f16 v17, v6, 2.0, v18 op_sel_hi:[1,0,1] neg_lo:[0,0,1] neg_hi:[0,0,1]
	v_pk_add_f16 v1, v0, v9 neg_lo:[0,1] neg_hi:[0,1]
	v_lshlrev_b32_e32 v104, 3, v59
	v_pk_fma_f16 v9, v7, 2.0, v10 op_sel_hi:[1,0,1] neg_lo:[0,0,1] neg_hi:[0,0,1]
	v_lshlrev_b32_e32 v105, 3, v90
	v_pk_add_f16 v8, v3, v8 neg_lo:[0,1] neg_hi:[0,1]
	global_wb scope:SCOPE_SE
	s_wait_kmcnt 0x0
	s_barrier_signal -1
	s_barrier_wait -1
	global_inv scope:SCOPE_SE
	ds_store_b64 v102, v[17:18]
	ds_store_b64 v104, v[9:10]
	v_lshlrev_b32_e32 v99, 3, v60
	v_pk_fma_f16 v10, v4, 2.0, v11 op_sel_hi:[1,0,1] neg_lo:[0,0,1] neg_hi:[0,0,1]
	v_lshlrev_b32_e32 v100, 3, v14
	v_lshlrev_b32_e32 v103, 3, v15
	;; [unrolled: 1-line block ×3, first 2 shown]
	v_pk_fma_f16 v18, v5, 2.0, v19 op_sel_hi:[1,0,1] neg_lo:[0,0,1] neg_hi:[0,0,1]
	v_pk_fma_f16 v20, v2, 2.0, v21 op_sel_hi:[1,0,1] neg_lo:[0,0,1] neg_hi:[0,0,1]
	;; [unrolled: 1-line block ×4, first 2 shown]
	v_add_nc_u32_e32 v2, 0x1000, v105
	ds_store_b64 v99, v[10:11]
	ds_store_b64 v100, v[18:19]
	;; [unrolled: 1-line block ×3, first 2 shown]
	ds_store_2addr_b64 v2, v[7:8], v[0:1] offset0:118 offset1:244
	s_and_saveexec_b32 s0, vcc_lo
	s_cbranch_execz .LBB0_7
; %bb.6:
	v_pk_fma_f16 v11, v16, 2.0, v12 op_sel_hi:[1,0,1] neg_lo:[0,0,1] neg_hi:[0,0,1]
	ds_store_b64 v101, v[11:12]
.LBB0_7:
	s_wait_alu 0xfffe
	s_or_b32 exec_lo, exec_lo, s0
	v_and_b32_e32 v16, 1, v90
	global_wb scope:SCOPE_SE
	s_wait_dscnt 0x0
	s_barrier_signal -1
	s_barrier_wait -1
	global_inv scope:SCOPE_SE
	v_lshlrev_b32_e32 v0, 3, v16
	v_add_nc_u32_e32 v5, 0x600, v69
	v_add_nc_u32_e32 v9, 0x1200, v69
	v_lshrrev_b32_e32 v17, 1, v90
	v_lshrrev_b32_e32 v18, 1, v59
	global_load_b64 v[27:28], v0, s[2:3]
	v_lshrrev_b32_e32 v19, 1, v60
	v_lshrrev_b32_e32 v20, 1, v14
	;; [unrolled: 1-line block ×3, first 2 shown]
	v_and_b32_e32 v3, 0xff, v90
	v_and_b32_e32 v2, 0xff, v59
	;; [unrolled: 1-line block ×3, first 2 shown]
	v_add_nc_u32_e32 v8, 0xa00, v69
	v_add_nc_u32_e32 v4, 0x200, v69
	;; [unrolled: 1-line block ×3, first 2 shown]
	ds_load_2addr_b32 v[0:1], v69 offset1:126
	v_add_nc_u32_e32 v6, 0xe00, v69
	ds_load_b32 v29, v69 offset:7056
	ds_load_2addr_b32 v[30:31], v5 offset0:120 offset1:246
	ds_load_2addr_b32 v[32:33], v9 offset0:108 offset1:234
	;; [unrolled: 1-line block ×6, first 2 shown]
	v_and_b32_e32 v10, 0xffff, v60
	v_mul_u32_u24_e32 v17, 6, v17
	v_mul_u32_u24_e32 v18, 6, v18
	;; [unrolled: 1-line block ×5, first 2 shown]
	v_mul_lo_u16 v22, 0xab, v3
	v_mul_lo_u16 v23, 0xab, v2
	v_mul_u32_u24_e32 v39, 0xaaab, v11
	v_mul_u32_u24_e32 v38, 0xaaab, v10
	v_or_b32_e32 v45, v17, v16
	v_or_b32_e32 v46, v18, v16
	;; [unrolled: 1-line block ×5, first 2 shown]
	v_lshrrev_b16 v16, 10, v22
	v_lshrrev_b16 v22, 10, v23
	v_lshrrev_b32_e32 v19, 18, v39
	v_lshrrev_b32_e32 v18, 18, v38
	v_lshlrev_b32_e32 v106, 2, v21
	v_and_b32_e32 v13, 0xffff, v15
	v_mul_lo_u16 v21, v22, 6
	v_mul_lo_u16 v38, v19, 6
	v_lshlrev_b32_e32 v110, 2, v45
	s_wait_dscnt 0x4
	v_lshrrev_b32_e32 v52, 16, v32
	s_wait_dscnt 0x3
	v_lshrrev_b32_e32 v53, 16, v34
	v_sub_nc_u16 v45, v59, v21
	v_sub_nc_u16 v21, v14, v38
	v_lshrrev_b32_e32 v38, 16, v31
	v_lshrrev_b32_e32 v54, 16, v33
	;; [unrolled: 1-line block ×3, first 2 shown]
	s_wait_dscnt 0x1
	v_lshrrev_b32_e32 v57, 16, v40
	v_mul_u32_u24_e32 v44, 0xaaab, v13
	v_lshrrev_b32_e32 v50, 16, v29
	s_wait_dscnt 0x0
	v_lshrrev_b32_e32 v61, 16, v42
	v_lshrrev_b32_e32 v62, 16, v41
	v_lshrrev_b32_e32 v64, 16, v43
	v_lshrrev_b32_e32 v17, 18, v44
	v_lshlrev_b32_e32 v107, 2, v20
	v_mul_lo_u16 v20, v16, 6
	v_mul_lo_u16 v23, v18, 6
	v_lshrrev_b32_e32 v48, 16, v0
	v_lshrrev_b32_e32 v49, 16, v1
	v_mul_lo_u16 v39, v17, 6
	v_lshrrev_b32_e32 v63, 16, v30
	v_sub_nc_u16 v44, v90, v20
	v_sub_nc_u16 v20, v60, v23
	v_lshrrev_b32_e32 v55, 16, v36
	v_sub_nc_u16 v51, v15, v39
	v_lshrrev_b32_e32 v58, 16, v37
	v_and_b32_e32 v23, 0xff, v44
	v_lshlrev_b16 v44, 3, v20
	v_and_b32_e32 v39, 0xff, v45
	v_lshlrev_b16 v45, 3, v21
	v_lshlrev_b32_e32 v109, 2, v46
	v_lshlrev_b16 v46, 3, v51
	v_and_b32_e32 v44, 0xffff, v44
	v_lshlrev_b32_e32 v108, 2, v47
	v_and_b32_e32 v47, 0xffff, v45
	v_lshlrev_b32_e32 v65, 3, v23
	v_and_b32_e32 v67, 0xffff, v46
	v_add_co_u32 v44, s0, s2, v44
	v_lshlrev_b32_e32 v66, 3, v39
	s_wait_alu 0xf1ff
	v_add_co_ci_u32_e64 v45, null, s3, 0, s0
	v_add_co_u32 v46, s0, s2, v47
	global_wb scope:SCOPE_SE
	s_wait_loadcnt 0x0
	s_barrier_signal -1
	s_barrier_wait -1
	global_inv scope:SCOPE_SE
	s_wait_alu 0xf1ff
	v_add_co_ci_u32_e64 v47, null, s3, 0, s0
	v_mul_u32_u24_e32 v10, 0xe38f, v10
	v_and_b32_e32 v16, 0xffff, v16
	v_and_b32_e32 v22, 0xffff, v22
	v_mad_u16 v20, v18, 18, v20
	v_mad_u16 v19, v19, 18, v21
	;; [unrolled: 1-line block ×3, first 2 shown]
                                        ; implicit-def: $vgpr163
                                        ; implicit-def: $vgpr165
                                        ; implicit-def: $vgpr166
	s_delay_alu instid0(VALU_DEP_4) | instskip(NEXT) | instid1(VALU_DEP_4)
	v_mul_u32_u24_e32 v22, 18, v22
	v_and_b32_e32 v20, 0xffff, v20
	s_delay_alu instid0(VALU_DEP_4) | instskip(NEXT) | instid1(VALU_DEP_4)
	v_and_b32_e32 v19, 0xffff, v19
	v_and_b32_e32 v21, 0xffff, v21
	v_lshrrev_b32_e32 v112, 16, v27
	v_lshrrev_b32_e32 v111, 16, v28
	s_delay_alu instid0(VALU_DEP_2) | instskip(SKIP_1) | instid1(VALU_DEP_3)
	v_mul_f16_e32 v68, v38, v112
	v_mul_f16_e32 v113, v31, v112
	;; [unrolled: 1-line block ×16, first 2 shown]
	v_mul_f16_e64 v128, v64, v112
	v_mul_f16_e64 v129, v43, v112
	;; [unrolled: 1-line block ×4, first 2 shown]
	v_fma_f16 v31, v31, v27, -v68
	v_fmac_f16_e32 v113, v38, v27
	v_fma_f16 v32, v32, v28, -v114
	v_fmac_f16_e32 v115, v52, v28
	;; [unrolled: 2-line block ×8, first 2 shown]
	v_fma_f16 v42, v43, v27, -v128
	v_fmac_f16_e64 v129, v64, v27
	v_fma_f16 v29, v29, v28, -v130
	v_fmac_f16_e64 v131, v50, v28
	v_add_f16_e32 v50, v31, v32
	v_add_f16_e32 v54, v113, v115
	;; [unrolled: 1-line block ×4, first 2 shown]
	v_sub_f16_e32 v52, v113, v115
	v_add_f16_e32 v53, v48, v113
	v_sub_f16_e32 v61, v117, v119
	v_add_f16_e32 v62, v49, v117
	v_add_f16_e32 v113, v35, v38
	;; [unrolled: 1-line block ×4, first 2 shown]
	v_sub_f16_e32 v31, v31, v32
	v_add_f16_e32 v120, v40, v41
	v_add_f16_e32 v124, v125, v127
	v_add_f16_e32 v126, v42, v29
	v_sub_f16_e64 v128, v129, v131
	v_add_f16_e64 v130, v63, v129
	v_add_f16_e64 v129, v129, v131
	v_fma_f16 v0, -0.5, v50, v0
	v_fmac_f16_e32 v48, -0.5, v54
	v_add_f16_e32 v56, v1, v34
	v_sub_f16_e32 v34, v34, v33
	v_fmac_f16_e32 v1, -0.5, v57
	v_fmac_f16_e32 v49, -0.5, v64
	v_add_f16_e32 v68, v36, v35
	v_sub_f16_e32 v114, v121, v123
	v_add_f16_e32 v116, v55, v121
	v_sub_f16_e32 v35, v35, v38
	v_fma_f16 v36, -0.5, v113, v36
	v_fmac_f16_e32 v55, -0.5, v117
	v_add_f16_e32 v118, v37, v40
	v_sub_f16_e32 v121, v125, v127
	v_add_f16_e32 v122, v58, v125
	v_sub_f16_e32 v40, v40, v41
	;; [unrolled: 2-line block ×3, first 2 shown]
	v_add_f16_e32 v32, v43, v32
	v_add_f16_e32 v43, v53, v115
	v_fmac_f16_e32 v37, -0.5, v120
	v_fmac_f16_e32 v58, -0.5, v124
	;; [unrolled: 1-line block ×3, first 2 shown]
	v_fmac_f16_e64 v63, -0.5, v129
	v_fmamk_f16 v57, v52, 0x3aee, v0
	v_fmac_f16_e32 v0, 0xbaee, v52
	v_fmamk_f16 v52, v31, 0xbaee, v48
	v_fmac_f16_e32 v48, 0x3aee, v31
	v_add_f16_e32 v33, v56, v33
	v_add_f16_e32 v50, v62, v119
	v_fmamk_f16 v31, v61, 0x3aee, v1
	v_fmac_f16_e32 v1, 0xbaee, v61
	v_fmamk_f16 v61, v34, 0xbaee, v49
	v_fmac_f16_e32 v49, 0x3aee, v34
	v_add_f16_e32 v38, v68, v38
	v_add_f16_e32 v53, v116, v123
	v_fmamk_f16 v34, v114, 0x3aee, v36
	v_fmamk_f16 v62, v35, 0xbaee, v55
	v_add_f16_e32 v41, v118, v41
	v_add_f16_e32 v54, v122, v127
	;; [unrolled: 1-line block ×3, first 2 shown]
	v_add_f16_e64 v56, v130, v131
	v_fmac_f16_e32 v36, 0xbaee, v114
	v_fmac_f16_e32 v55, 0x3aee, v35
	v_fmamk_f16 v35, v121, 0x3aee, v37
	v_fmac_f16_e32 v37, 0xbaee, v121
	v_fmamk_f16 v64, v40, 0xbaee, v58
	v_fmac_f16_e32 v58, 0x3aee, v40
	v_fma_f16 v40, 0x3aee, v128, v30
	v_fmac_f16_e64 v30, 0xbaee, v128
	v_fmamk_f16 v68, v42, 0xbaee, v63
	v_fmac_f16_e32 v63, 0x3aee, v42
	v_pack_b32_f16 v32, v32, v43
	v_pack_b32_f16 v42, v57, v52
	;; [unrolled: 1-line block ×15, first 2 shown]
	ds_store_2addr_b32 v110, v32, v42 offset1:2
	ds_store_b32 v110, v0 offset:16
	ds_store_2addr_b32 v109, v33, v31 offset1:2
	ds_store_b32 v109, v1 offset:16
	;; [unrolled: 2-line block ×5, first 2 shown]
	v_add_co_u32 v0, s0, s2, v67
	global_wb scope:SCOPE_SE
	s_wait_dscnt 0x0
	s_barrier_signal -1
	s_barrier_wait -1
	global_inv scope:SCOPE_SE
	s_clause 0x1
	global_load_b64 v[37:38], v65, s[2:3] offset:16
	global_load_b64 v[35:36], v66, s[2:3] offset:16
	s_wait_alu 0xf1ff
	v_add_co_ci_u32_e64 v1, null, s3, 0, s0
	s_clause 0x2
	global_load_b64 v[33:34], v[44:45], off offset:16
	global_load_b64 v[31:32], v[46:47], off offset:16
	global_load_b64 v[29:30], v[0:1], off offset:16
	v_mul_lo_u16 v0, v3, 57
	v_mul_lo_u16 v1, v2, 57
	v_mul_u32_u24_e32 v40, 0xe38f, v11
	v_mul_u32_u24_e32 v41, 0xe38f, v13
	v_mul_u32_u24_e32 v45, 18, v16
	v_lshrrev_b16 v11, 10, v0
	v_lshrrev_b32_e32 v0, 20, v10
	v_lshrrev_b16 v13, 10, v1
	v_lshrrev_b32_e32 v1, 20, v40
	v_lshrrev_b32_e32 v10, 20, v41
	v_mul_lo_u16 v40, v11, 18
	v_mul_lo_u16 v42, v0, 18
	v_mul_lo_u16 v41, v13, 18
	v_mul_lo_u16 v43, v1, 18
	v_mul_lo_u16 v44, v10, 18
	v_sub_nc_u16 v40, v90, v40
	v_sub_nc_u16 v16, v60, v42
	;; [unrolled: 1-line block ×5, first 2 shown]
	v_and_b32_e32 v17, 0xff, v40
	v_lshlrev_b16 v40, 3, v16
	v_and_b32_e32 v18, 0xff, v41
	v_lshlrev_b16 v41, 3, v14
	v_lshlrev_b16 v42, 3, v15
	v_add_lshl_u32 v117, v45, v23, 2
	v_and_b32_e32 v47, 0xffff, v40
	v_add_lshl_u32 v116, v22, v39, 2
	v_and_b32_e32 v51, 0xffff, v41
	v_and_b32_e32 v54, 0xffff, v42
	v_lshlrev_b32_e32 v115, 2, v20
	v_lshlrev_b32_e32 v114, 2, v19
	;; [unrolled: 1-line block ×3, first 2 shown]
	ds_load_2addr_b32 v[19:20], v69 offset1:126
	ds_load_2addr_b32 v[21:22], v5 offset0:120 offset1:246
	ds_load_2addr_b32 v[39:40], v9 offset0:108 offset1:234
	;; [unrolled: 1-line block ×5, first 2 shown]
	v_add_co_u32 v49, s0, s2, v47
	ds_load_2addr_b32 v[47:48], v6 offset0:112 offset1:238
	ds_load_b32 v55, v69 offset:7056
	v_lshlrev_b32_e32 v23, 3, v17
	v_lshlrev_b32_e32 v53, 3, v18
	s_wait_alu 0xf1ff
	v_add_co_ci_u32_e64 v50, null, s3, 0, s0
	v_add_co_u32 v51, s0, s2, v51
	s_wait_alu 0xf1ff
	v_add_co_ci_u32_e64 v52, null, s3, 0, s0
	global_wb scope:SCOPE_SE
	s_wait_loadcnt_dscnt 0x0
	s_barrier_signal -1
	s_barrier_wait -1
	v_lshrrev_b32_e32 v61, 16, v20
	v_lshrrev_b32_e32 v57, 16, v22
	;; [unrolled: 1-line block ×15, first 2 shown]
	global_inv scope:SCOPE_SE
	v_and_b32_e32 v11, 0xffff, v11
	v_and_b32_e32 v13, 0xffff, v13
	v_mad_u16 v16, v0, 54, v16
	v_mad_u16 v14, v1, 54, v14
	s_delay_alu instid0(VALU_DEP_4) | instskip(NEXT) | instid1(VALU_DEP_4)
	v_mul_u32_u24_e32 v11, 54, v11
	v_mul_u32_u24_e32 v13, 54, v13
	v_lshrrev_b32_e32 v132, 16, v37
	v_lshrrev_b32_e32 v131, 16, v38
	;; [unrolled: 1-line block ×10, first 2 shown]
	v_mul_f16_e64 v128, v22, v132
	v_mul_f16_e64 v133, v58, v131
	;; [unrolled: 1-line block ×20, first 2 shown]
	v_fma_f16 v39, v39, v38, -v133
	v_fmac_f16_e64 v134, v58, v38
	v_fmac_f16_e64 v128, v57, v37
	v_fma_f16 v22, v22, v37, -v145
	v_fma_f16 v40, v40, v36, -v136
	;; [unrolled: 1-line block ×3, first 2 shown]
	v_fmac_f16_e64 v137, v62, v35
	v_fmac_f16_e64 v138, v63, v36
	v_fma_f16 v42, v42, v33, -v139
	v_fma_f16 v45, v45, v34, -v140
	v_fmac_f16_e64 v142, v65, v33
	v_fmac_f16_e64 v143, v66, v34
	v_fma_f16 v46, v46, v32, -v141
	v_fmac_f16_e64 v147, v68, v31
	v_fmac_f16_e64 v144, v123, v32
	v_fma_f16 v47, v47, v31, -v146
	v_fma_f16 v48, v48, v29, -v148
	v_fmac_f16_e64 v149, v125, v29
	v_fma_f16 v55, v55, v30, -v150
	v_fmac_f16_e64 v151, v127, v30
	v_add_f16_e32 v58, v22, v39
	v_add_f16_e64 v65, v128, v134
	v_add_f16_e32 v68, v41, v40
	v_add_f16_e64 v127, v137, v138
	v_sub_f16_e64 v123, v137, v138
	v_add_f16_e64 v125, v61, v137
	v_add_f16_e64 v133, v42, v45
	;; [unrolled: 1-line block ×3, first 2 shown]
	v_add_f16_e32 v57, v19, v22
	v_sub_f16_e64 v62, v128, v134
	v_add_f16_e64 v63, v56, v128
	v_sub_f16_e32 v22, v22, v39
	v_sub_f16_e64 v135, v142, v143
	v_add_f16_e64 v136, v64, v142
	v_add_f16_e64 v140, v47, v46
	;; [unrolled: 1-line block ×3, first 2 shown]
	v_sub_f16_e64 v142, v147, v144
	v_add_f16_e64 v145, v147, v144
	v_add_f16_e64 v146, v21, v48
	;; [unrolled: 1-line block ×4, first 2 shown]
	v_sub_f16_e64 v150, v149, v151
	v_add_f16_e64 v149, v149, v151
	v_fmac_f16_e32 v56, -0.5, v65
	v_fma_f16 v19, -0.5, v58, v19
	v_add_f16_e32 v66, v20, v41
	v_sub_f16_e32 v41, v41, v40
	v_fmac_f16_e32 v20, -0.5, v68
	v_fmac_f16_e32 v61, -0.5, v127
	v_add_f16_e64 v128, v43, v42
	v_sub_f16_e32 v42, v42, v45
	v_fmac_f16_e64 v64, -0.5, v137
	v_fma_f16 v43, -0.5, v133, v43
	v_add_f16_e64 v139, v44, v47
	v_sub_f16_e32 v47, v47, v46
	v_sub_f16_e32 v48, v48, v55
	v_add_f16_e32 v39, v57, v39
	v_add_f16_e64 v57, v63, v134
	v_fmac_f16_e64 v44, -0.5, v140
	v_fmac_f16_e64 v67, -0.5, v145
	v_add_f16_e64 v55, v146, v55
	v_fmac_f16_e64 v21, -0.5, v147
	v_add_f16_e64 v58, v148, v151
	v_fmac_f16_e64 v124, -0.5, v149
	v_fmamk_f16 v68, v62, 0x3aee, v19
	v_fmac_f16_e32 v19, 0xbaee, v62
	v_fmamk_f16 v62, v22, 0xbaee, v56
	v_fmac_f16_e32 v56, 0x3aee, v22
	v_add_f16_e32 v40, v66, v40
	v_add_f16_e64 v63, v125, v138
	v_fmamk_f16 v22, v123, 0x3aee, v20
	v_fmac_f16_e32 v20, 0xbaee, v123
	v_fmamk_f16 v123, v41, 0xbaee, v61
	v_fmac_f16_e32 v61, 0x3aee, v41
	v_add_f16_e64 v45, v128, v45
	v_add_f16_e64 v65, v136, v143
	v_fma_f16 v41, 0x3aee, v135, v43
	v_fmamk_f16 v125, v42, 0xbaee, v64
	v_add_f16_e64 v46, v139, v46
	v_add_f16_e64 v66, v141, v144
	v_fmac_f16_e64 v43, 0xbaee, v135
	v_fmac_f16_e32 v64, 0x3aee, v42
	v_fma_f16 v42, 0x3aee, v142, v44
	v_fmac_f16_e64 v44, 0xbaee, v142
	v_fmamk_f16 v127, v47, 0xbaee, v67
	v_fmac_f16_e32 v67, 0x3aee, v47
	v_fma_f16 v47, 0x3aee, v150, v21
	v_fmac_f16_e64 v21, 0xbaee, v150
	v_fma_f16 v128, 0xbaee, v48, v124
	v_fmac_f16_e32 v124, 0x3aee, v48
	v_pack_b32_f16 v39, v39, v57
	v_pack_b32_f16 v48, v55, v58
	v_pack_b32_f16 v55, v68, v62
	v_pack_b32_f16 v19, v19, v56
	v_pack_b32_f16 v40, v40, v63
	v_pack_b32_f16 v22, v22, v123
	v_pack_b32_f16 v20, v20, v61
	v_pack_b32_f16 v45, v45, v65
	v_pack_b32_f16 v41, v41, v125
	v_pack_b32_f16 v46, v46, v66
	v_pack_b32_f16 v43, v43, v64
	v_pack_b32_f16 v42, v42, v127
	v_pack_b32_f16 v44, v44, v67
	v_pack_b32_f16 v47, v47, v128
	v_pack_b32_f16 v21, v21, v124
	ds_store_2addr_b32 v117, v39, v55 offset1:6
	ds_store_b32 v117, v19 offset:48
	ds_store_2addr_b32 v116, v40, v22 offset1:6
	ds_store_b32 v116, v20 offset:48
	;; [unrolled: 2-line block ×5, first 2 shown]
	v_add_co_u32 v19, s0, s2, v54
	global_wb scope:SCOPE_SE
	s_wait_dscnt 0x0
	s_barrier_signal -1
	s_barrier_wait -1
	global_inv scope:SCOPE_SE
	s_clause 0x1
	global_load_b64 v[47:48], v23, s[2:3] offset:64
	global_load_b64 v[45:46], v53, s[2:3] offset:64
	s_wait_alu 0xf1ff
	v_add_co_ci_u32_e64 v20, null, s3, 0, s0
	s_clause 0x2
	global_load_b64 v[43:44], v[49:50], off offset:64
	global_load_b64 v[41:42], v[51:52], off offset:64
	;; [unrolled: 1-line block ×3, first 2 shown]
	ds_load_2addr_b32 v[0:1], v9 offset0:108 offset1:234
	ds_load_2addr_b32 v[8:9], v8 offset0:116 offset1:242
	v_mad_u16 v22, v10, 54, v15
	v_add_lshl_u32 v128, v11, v17, 2
	v_add_lshl_u32 v127, v13, v18, 2
	ds_load_2addr_b32 v[10:11], v7 offset0:104 offset1:230
	ds_load_2addr_b32 v[6:7], v6 offset0:112 offset1:238
	v_and_b32_e32 v17, 0xffff, v16
	v_and_b32_e32 v18, 0xffff, v14
	ds_load_2addr_b32 v[13:14], v5 offset0:120 offset1:246
	ds_load_2addr_b32 v[15:16], v69 offset1:126
	ds_load_b32 v23, v69 offset:7056
	ds_load_2addr_b32 v[4:5], v4 offset0:124 offset1:250
	v_and_b32_e32 v22, 0xffff, v22
	v_lshlrev_b32_e32 v125, 2, v17
	v_lshlrev_b32_e32 v124, 2, v18
	v_add_nc_u32_e32 v19, 0x400, v69
	v_add_nc_u32_e32 v20, 0x800, v69
	v_lshlrev_b32_e32 v123, 2, v22
	v_add_nc_u32_e32 v21, 0xc00, v69
	v_add_nc_u32_e32 v49, 0x1000, v69
	;; [unrolled: 1-line block ×4, first 2 shown]
	s_wait_dscnt 0x7
	v_lshrrev_b32_e32 v17, 16, v0
	s_wait_dscnt 0x6
	v_lshrrev_b32_e32 v18, 16, v8
	v_lshrrev_b32_e32 v22, 16, v1
	;; [unrolled: 1-line block ×3, first 2 shown]
	s_wait_dscnt 0x5
	v_lshrrev_b32_e32 v53, 16, v10
	s_wait_dscnt 0x4
	v_lshrrev_b32_e32 v56, 16, v7
	v_lshrrev_b32_e32 v54, 16, v6
	s_wait_dscnt 0x3
	v_lshrrev_b32_e32 v57, 16, v14
	s_wait_dscnt 0x1
	v_lshrrev_b32_e32 v63, 16, v23
	v_lshrrev_b32_e32 v55, 16, v11
	;; [unrolled: 1-line block ×4, first 2 shown]
	s_wait_dscnt 0x0
	v_lshrrev_b32_e32 v64, 16, v4
	v_lshrrev_b32_e32 v65, 16, v5
	;; [unrolled: 1-line block ×3, first 2 shown]
	global_wb scope:SCOPE_SE
	s_wait_loadcnt 0x0
	s_barrier_signal -1
	s_barrier_wait -1
	global_inv scope:SCOPE_SE
	v_cmp_gt_u16_e64 s0, 18, v90
	v_lshrrev_b32_e32 v141, 16, v48
	v_lshrrev_b32_e32 v140, 16, v45
	;; [unrolled: 1-line block ×10, first 2 shown]
	v_mul_f16_e64 v66, v17, v141
	v_mul_f16_e64 v67, v0, v141
	;; [unrolled: 1-line block ×20, first 2 shown]
	v_fma_f16 v0, v0, v48, -v66
	v_fma_f16 v1, v1, v46, -v144
	v_fma_f16 v8, v8, v45, -v68
	v_fmac_f16_e32 v67, v17, v48
	v_fmac_f16_e64 v143, v18, v45
	v_fmac_f16_e64 v145, v22, v46
	;; [unrolled: 1-line block ×3, first 2 shown]
	v_fma_f16 v14, v14, v47, -v157
	v_fma_f16 v9, v9, v43, -v146
	;; [unrolled: 1-line block ×4, first 2 shown]
	v_fmac_f16_e64 v147, v52, v43
	v_fmac_f16_e64 v149, v53, v44
	;; [unrolled: 1-line block ×5, first 2 shown]
	v_fma_f16 v17, v23, v40, -v158
	v_fmac_f16_e64 v159, v63, v40
	v_fma_f16 v11, v11, v42, -v151
	v_fma_f16 v6, v6, v41, -v150
	v_add_f16_e32 v18, v8, v1
	v_add_f16_e64 v22, v143, v145
	v_add_f16_e32 v54, v14, v0
	v_add_f16_e64 v57, v156, v67
	v_add_f16_e64 v56, v62, v156
	v_sub_f16_e64 v63, v156, v67
	v_add_f16_e32 v68, v9, v10
	v_add_f16_e64 v144, v147, v149
	v_add_f16_e64 v151, v152, v154
	;; [unrolled: 1-line block ×4, first 2 shown]
	v_add_f16_e32 v23, v16, v8
	v_add_f16_e64 v52, v58, v143
	v_sub_f16_e64 v53, v143, v145
	v_sub_f16_e32 v8, v8, v1
	v_add_f16_e32 v55, v15, v14
	v_sub_f16_e32 v14, v14, v0
	v_add_f16_e64 v148, v6, v11
	v_fmac_f16_e32 v16, -0.5, v18
	v_fmac_f16_e32 v58, -0.5, v22
	v_fma_f16 v15, -0.5, v54, v15
	v_fmac_f16_e32 v62, -0.5, v57
	v_add_f16_e32 v66, v4, v9
	v_add_f16_e64 v143, v64, v147
	v_sub_f16_e64 v146, v147, v149
	v_add_f16_e64 v147, v5, v6
	v_add_f16_e64 v150, v65, v152
	;; [unrolled: 1-line block ×4, first 2 shown]
	v_sub_f16_e32 v9, v9, v10
	v_sub_f16_e32 v6, v6, v11
	;; [unrolled: 1-line block ×3, first 2 shown]
	v_sub_f16_e64 v155, v155, v159
	v_fmac_f16_e64 v64, -0.5, v144
	v_fmac_f16_e64 v65, -0.5, v151
	;; [unrolled: 1-line block ×4, first 2 shown]
	v_fma_f16 v4, -0.5, v68, v4
	v_sub_f16_e64 v152, v152, v154
	v_add_f16_e32 v0, v55, v0
	v_add_f16_e32 v18, v56, v67
	v_fmac_f16_e64 v5, -0.5, v148
	v_fmamk_f16 v55, v53, 0x3aee, v16
	v_fmac_f16_e32 v16, 0xbaee, v53
	v_fmamk_f16 v53, v8, 0xbaee, v58
	v_fmac_f16_e32 v58, 0x3aee, v8
	v_fmamk_f16 v8, v63, 0x3aee, v15
	v_fmamk_f16 v56, v14, 0xbaee, v62
	v_fmac_f16_e32 v15, 0xbaee, v63
	v_fmac_f16_e32 v62, 0x3aee, v14
	v_add_f16_e32 v1, v23, v1
	v_add_f16_e64 v22, v52, v145
	v_add_f16_e32 v10, v66, v10
	v_add_f16_e64 v23, v143, v149
	v_add_f16_e64 v11, v147, v11
	;; [unrolled: 1-line block ×5, first 2 shown]
	v_fma_f16 v14, 0x3aee, v146, v4
	v_fmamk_f16 v57, v9, 0xbaee, v64
	v_fmamk_f16 v63, v6, 0xbaee, v65
	v_fmac_f16_e32 v65, 0x3aee, v6
	v_fma_f16 v6, 0x3aee, v155, v13
	v_fmac_f16_e64 v13, 0xbaee, v155
	v_fmamk_f16 v66, v7, 0xbaee, v61
	v_fmac_f16_e32 v61, 0x3aee, v7
	v_fmac_f16_e64 v4, 0xbaee, v146
	v_fmac_f16_e32 v64, 0x3aee, v9
	v_fma_f16 v9, 0x3aee, v152, v5
	v_fmac_f16_e64 v5, 0xbaee, v152
	v_pack_b32_f16 v0, v0, v18
	v_pack_b32_f16 v8, v8, v56
	v_pack_b32_f16 v15, v15, v62
	v_pack_b32_f16 v1, v1, v22
	v_pack_b32_f16 v7, v10, v23
	v_pack_b32_f16 v10, v11, v52
	v_pack_b32_f16 v11, v17, v54
	v_pack_b32_f16 v17, v55, v53
	v_pack_b32_f16 v16, v16, v58
	v_pack_b32_f16 v14, v14, v57
	v_pack_b32_f16 v18, v13, v61
	v_pack_b32_f16 v4, v4, v64
	v_pack_b32_f16 v9, v9, v63
	v_pack_b32_f16 v5, v5, v65
	v_pack_b32_f16 v6, v6, v66
	ds_store_2addr_b32 v128, v0, v8 offset1:18
	ds_store_b32 v128, v15 offset:144
	ds_store_2addr_b32 v127, v1, v17 offset1:18
	ds_store_b32 v127, v16 offset:144
	;; [unrolled: 2-line block ×5, first 2 shown]
	global_wb scope:SCOPE_SE
	s_wait_dscnt 0x0
	s_barrier_signal -1
	s_barrier_wait -1
	global_inv scope:SCOPE_SE
	ds_load_2addr_b32 v[14:15], v69 offset1:126
	ds_load_2addr_b32 v[57:58], v19 offset0:14 offset1:140
	ds_load_2addr_b32 v[55:56], v20 offset0:28 offset1:154
	;; [unrolled: 1-line block ×6, first 2 shown]
                                        ; implicit-def: $vgpr63
                                        ; implicit-def: $vgpr68
                                        ; implicit-def: $vgpr64
                                        ; implicit-def: $vgpr151
                                        ; implicit-def: $vgpr67
                                        ; implicit-def: $vgpr66
                                        ; implicit-def: $vgpr65
	s_and_saveexec_b32 s1, s0
	s_cbranch_execz .LBB0_9
; %bb.8:
	ds_load_b32 v13, v69 offset:1008
	ds_load_b32 v65, v69 offset:3168
	;; [unrolled: 1-line block ×7, first 2 shown]
	s_wait_dscnt 0x6
	v_lshrrev_b32_e32 v61, 16, v13
	s_wait_dscnt 0x5
	v_lshrrev_b32_e32 v166, 16, v65
	;; [unrolled: 2-line block ×6, first 2 shown]
.LBB0_9:
	s_wait_alu 0xfffe
	s_or_b32 exec_lo, exec_lo, s1
	v_mul_lo_u16 v0, v3, 19
	s_wait_dscnt 0x5
	v_lshrrev_b32_e32 v147, 16, v57
	s_wait_dscnt 0x4
	v_lshrrev_b32_e32 v148, 16, v55
	;; [unrolled: 2-line block ×4, first 2 shown]
	v_lshrrev_b16 v143, 10, v0
	v_mul_lo_u16 v0, v2, 19
	s_wait_dscnt 0x1
	v_lshrrev_b32_e32 v168, 16, v18
	s_wait_dscnt 0x0
	v_lshrrev_b32_e32 v169, 16, v16
	v_lshrrev_b32_e32 v171, 16, v58
	v_mul_lo_u16 v1, v143, 54
	v_lshrrev_b16 v144, 10, v0
	v_and_b32_e32 v143, 0xffff, v143
	v_lshrrev_b32_e32 v172, 16, v56
	v_lshrrev_b32_e32 v173, 16, v23
	v_sub_nc_u16 v0, v90, v1
	v_mul_lo_u16 v1, v144, 54
	v_and_b32_e32 v144, 0xffff, v144
	v_mul_u32_u24_e32 v143, 0x17a, v143
	v_lshrrev_b32_e32 v174, 16, v21
	v_and_b32_e32 v145, 0xff, v0
	v_sub_nc_u16 v2, v59, v1
	v_mul_u32_u24_e32 v152, 0x17a, v144
	v_lshrrev_b32_e32 v175, 16, v12
	v_lshrrev_b32_e32 v167, 16, v14
	v_mad_co_u64_u32 v[0:1], null, v145, 24, s[2:3]
	v_and_b32_e32 v146, 0xff, v2
	v_add_lshl_u32 v144, v143, v145, 2
	v_lshrrev_b32_e32 v145, 16, v19
	v_lshrrev_b32_e32 v170, 16, v15
	s_delay_alu instid0(VALU_DEP_4)
	v_mad_co_u64_u32 v[2:3], null, v146, 24, s[2:3]
	v_add_lshl_u32 v143, v152, v146, 2
	v_lshrrev_b32_e32 v146, 16, v17
	s_clause 0x3
	global_load_b128 v[8:11], v[0:1], off offset:208
	global_load_b64 v[53:54], v[0:1], off offset:224
	global_load_b128 v[4:7], v[2:3], off offset:208
	global_load_b64 v[51:52], v[2:3], off offset:224
	v_lshrrev_b16 v0, 1, v60
	v_add_nc_u32_e32 v176, 0x200, v144
	v_add_nc_u32_e32 v177, 0x200, v143
	s_delay_alu instid0(VALU_DEP_3) | instskip(NEXT) | instid1(VALU_DEP_1)
	v_and_b32_e32 v0, 0xffff, v0
	v_mul_u32_u24_e32 v0, 0x97b5, v0
	s_delay_alu instid0(VALU_DEP_1) | instskip(NEXT) | instid1(VALU_DEP_1)
	v_lshrrev_b32_e32 v0, 20, v0
	v_mul_lo_u16 v0, v0, 54
	s_delay_alu instid0(VALU_DEP_1) | instskip(NEXT) | instid1(VALU_DEP_1)
	v_sub_nc_u16 v62, v60, v0
	v_mul_lo_u16 v0, v62, 24
	s_delay_alu instid0(VALU_DEP_1) | instskip(NEXT) | instid1(VALU_DEP_1)
	v_and_b32_e32 v0, 0xffff, v0
	v_add_co_u32 v49, s1, s2, v0
	s_wait_alu 0xf1ff
	v_add_co_ci_u32_e64 v50, null, s3, 0, s1
	s_clause 0x1
	global_load_b128 v[0:3], v[49:50], off offset:208
	global_load_b64 v[49:50], v[49:50], off offset:224
	global_wb scope:SCOPE_SE
	s_wait_loadcnt 0x0
	s_barrier_signal -1
	s_barrier_wait -1
	global_inv scope:SCOPE_SE
	v_lshrrev_b32_e32 v164, 16, v8
	v_lshrrev_b32_e32 v162, 16, v9
	;; [unrolled: 1-line block ×12, first 2 shown]
	v_mul_f16_e64 v178, v147, v164
	v_mul_f16_e64 v179, v57, v164
	;; [unrolled: 1-line block ×24, first 2 shown]
	v_fma_f16 v57, v57, v8, -v178
	v_fmac_f16_e64 v179, v147, v8
	v_fma_f16 v55, v55, v9, -v180
	v_fmac_f16_e64 v181, v148, v9
	;; [unrolled: 2-line block ×12, first 2 shown]
	v_lshrrev_b32_e32 v149, 16, v0
	v_lshrrev_b32_e32 v147, 16, v1
	;; [unrolled: 1-line block ×6, first 2 shown]
	v_add_f16_e64 v168, v57, v16
	v_add_f16_e64 v169, v179, v189
	v_sub_f16_e32 v16, v57, v16
	v_sub_f16_e64 v57, v179, v189
	v_add_f16_e64 v171, v55, v18
	v_add_f16_e64 v172, v181, v187
	v_sub_f16_e32 v18, v55, v18
	v_sub_f16_e64 v55, v181, v187
	;; [unrolled: 4-line block ×6, first 2 shown]
	v_mul_f16_e64 v184, v175, v149
	v_mul_f16_e64 v185, v12, v149
	;; [unrolled: 1-line block ×12, first 2 shown]
	v_add_f16_e64 v196, v171, v168
	v_add_f16_e64 v197, v172, v169
	v_sub_f16_e64 v199, v172, v169
	v_sub_f16_e64 v169, v169, v174
	v_add_f16_e64 v200, v20, v18
	v_add_f16_e64 v201, v22, v55
	v_sub_f16_e64 v202, v20, v18
	v_sub_f16_e64 v203, v22, v55
	v_sub_f16_e32 v18, v18, v16
	v_sub_f16_e32 v55, v55, v57
	v_add_f16_e64 v204, v180, v178
	v_add_f16_e64 v205, v181, v179
	v_sub_f16_e64 v206, v180, v178
	v_sub_f16_e64 v207, v181, v179
	;; [unrolled: 1-line block ×6, first 2 shown]
	v_add_f16_e64 v208, v21, v19
	v_add_f16_e64 v209, v23, v56
	v_sub_f16_e64 v210, v21, v19
	v_sub_f16_e64 v211, v23, v56
	v_sub_f16_e32 v19, v19, v17
	v_sub_f16_e32 v56, v56, v58
	v_fma_f16 v12, v12, v0, -v184
	v_fmac_f16_e64 v185, v175, v0
	v_fma_f16 v65, v65, v1, -v186
	v_fmac_f16_e64 v187, v166, v1
	;; [unrolled: 2-line block ×4, first 2 shown]
	v_sub_f16_e64 v198, v171, v168
	v_sub_f16_e64 v168, v168, v173
	;; [unrolled: 1-line block ×4, first 2 shown]
	v_sub_f16_e32 v20, v16, v20
	v_sub_f16_e32 v22, v57, v22
	;; [unrolled: 1-line block ×4, first 2 shown]
	v_fma_f16 v63, v63, v2, -v188
	v_fmac_f16_e64 v189, v68, v2
	v_fma_f16 v66, v66, v3, -v190
	v_fmac_f16_e64 v191, v165, v3
	v_add_f16_e64 v68, v173, v196
	v_add_f16_e64 v151, v174, v197
	v_mul_f16_e64 v165, 0x3a52, v169
	v_mul_f16_e64 v169, 0xb846, v202
	;; [unrolled: 1-line block ×5, first 2 shown]
	v_add_f16_e64 v182, v182, v204
	v_add_f16_e64 v183, v183, v205
	v_mul_f16_e64 v178, 0x3a52, v178
	v_mul_f16_e64 v179, 0x3a52, v179
	v_mul_f16_e64 v184, 0x2b26, v180
	v_mul_f16_e64 v186, 0x2b26, v181
	v_mul_f16_e64 v188, 0xb846, v210
	v_mul_f16_e64 v190, 0xb846, v211
	v_mul_f16_e64 v192, 0x3b00, v19
	v_mul_f16_e64 v194, 0x3b00, v56
	v_add_f16_e64 v196, v12, v67
	v_add_f16_e64 v197, v185, v195
	v_sub_f16_e32 v12, v12, v67
	v_sub_f16_e64 v67, v185, v195
	v_add_f16_e64 v185, v65, v64
	v_add_f16_e64 v195, v187, v193
	;; [unrolled: 1-line block ×4, first 2 shown]
	v_mul_f16_e64 v163, 0x3a52, v168
	v_mul_f16_e64 v166, 0x2b26, v171
	;; [unrolled: 1-line block ×3, first 2 shown]
	v_add_f16_e64 v17, v208, v17
	v_add_f16_e64 v58, v209, v58
	v_sub_f16_e32 v64, v65, v64
	v_sub_f16_e64 v65, v187, v193
	v_add_f16_e64 v187, v63, v66
	v_add_f16_e64 v193, v189, v191
	v_sub_f16_e32 v63, v66, v63
	v_sub_f16_e64 v66, v191, v189
	v_add_f16_e32 v14, v14, v68
	v_add_f16_e64 v167, v167, v151
	v_fma_f16 v189, 0x3574, v20, v169
	v_fma_f16 v191, 0x3574, v22, v173
	v_fma_f16 v18, v18, 0x3b00, -v169
	v_fma_f16 v55, v55, 0x3b00, -v173
	;; [unrolled: 1-line block ×4, first 2 shown]
	v_add_f16_e64 v15, v15, v182
	v_add_f16_e64 v169, v170, v183
	v_fma_f16 v170, 0x2b26, v180, v178
	v_fma_f16 v173, 0x2b26, v181, v179
	v_fma_f16 v174, v206, 0x39e0, -v184
	v_fma_f16 v175, v207, 0x39e0, -v186
	v_fma_f16 v180, 0x3574, v21, v188
	v_fma_f16 v181, 0x3574, v23, v190
	v_fma_f16 v19, v19, 0x3b00, -v188
	v_fma_f16 v56, v56, 0x3b00, -v190
	;; [unrolled: 1-line block ×4, first 2 shown]
	v_add_f16_e64 v184, v185, v196
	v_add_f16_e64 v186, v195, v197
	v_fma_f16 v171, 0x2b26, v171, v163
	v_fma_f16 v172, 0x2b26, v172, v165
	v_fma_f16 v166, v198, 0x39e0, -v166
	v_fma_f16 v168, v199, 0x39e0, -v168
	;; [unrolled: 1-line block ×6, first 2 shown]
	v_sub_f16_e64 v188, v185, v196
	v_sub_f16_e64 v190, v195, v197
	;; [unrolled: 1-line block ×6, first 2 shown]
	v_add_f16_e64 v196, v63, v64
	v_add_f16_e64 v197, v66, v65
	v_sub_f16_e64 v198, v63, v64
	v_sub_f16_e64 v199, v66, v65
	v_sub_f16_e32 v64, v64, v12
	v_sub_f16_e32 v65, v65, v67
	v_fmamk_f16 v68, v68, 0xbcab, v14
	v_fma_f16 v151, 0xbcab, v151, v167
	v_fmac_f16_e64 v189, 0x370e, v16
	v_fmac_f16_e64 v191, 0x370e, v57
	v_fmac_f16_e32 v18, 0x370e, v16
	v_fmac_f16_e32 v55, 0x370e, v57
	;; [unrolled: 1-line block ×4, first 2 shown]
	v_fma_f16 v16, 0xbcab, v182, v15
	v_fma_f16 v57, 0xbcab, v183, v169
	v_fmac_f16_e64 v180, 0x370e, v17
	v_fmac_f16_e64 v181, 0x370e, v58
	v_fmac_f16_e32 v19, 0x370e, v17
	v_fmac_f16_e32 v56, 0x370e, v58
	;; [unrolled: 1-line block ×4, first 2 shown]
	v_add_f16_e64 v17, v187, v184
	v_add_f16_e64 v58, v193, v186
	v_sub_f16_e32 v63, v12, v63
	v_sub_f16_e32 v66, v67, v66
	v_pack_b32_f16 v14, v14, v167
	v_pack_b32_f16 v15, v15, v169
	v_add_f16_e64 v167, v196, v12
	v_mul_f16_e64 v169, 0x3a52, v192
	v_mul_f16_e64 v182, 0x3a52, v194
	;; [unrolled: 1-line block ×8, first 2 shown]
	v_add_f16_e64 v171, v171, v68
	v_add_f16_e64 v172, v172, v151
	;; [unrolled: 1-line block ×12, first 2 shown]
	v_add_f16_e32 v12, v13, v17
	v_add_f16_e32 v13, v61, v58
	v_add_f16_e64 v67, v197, v67
	v_fma_f16 v61, 0x2b26, v185, v169
	v_fma_f16 v174, 0x2b26, v195, v182
	v_fma_f16 v175, v188, 0x39e0, -v183
	v_fma_f16 v178, v190, 0x39e0, -v184
	;; [unrolled: 1-line block ×4, first 2 shown]
	v_fma_f16 v182, 0x3574, v63, v186
	v_fma_f16 v183, 0x3574, v66, v187
	v_fma_f16 v64, v64, 0x3b00, -v186
	v_fma_f16 v65, v65, 0x3b00, -v187
	;; [unrolled: 1-line block ×4, first 2 shown]
	v_add_f16_e64 v184, v191, v171
	v_sub_f16_e64 v185, v172, v189
	v_add_f16_e64 v186, v22, v68
	v_sub_f16_e64 v187, v151, v20
	v_sub_f16_e32 v22, v68, v22
	v_add_f16_e64 v20, v20, v151
	v_sub_f16_e64 v68, v171, v191
	v_add_f16_e64 v151, v189, v172
	v_add_f16_e64 v171, v23, v16
	v_sub_f16_e64 v172, v57, v21
	v_sub_f16_e64 v189, v170, v56
	v_add_f16_e64 v191, v19, v173
	v_add_f16_e64 v56, v56, v170
	v_sub_f16_e64 v19, v173, v19
	v_sub_f16_e32 v16, v16, v23
	v_add_f16_e32 v21, v21, v57
	v_sub_f16_e64 v23, v163, v181
	v_add_f16_e64 v57, v180, v165
	v_fmamk_f16 v17, v17, 0xbcab, v12
	v_fmamk_f16 v58, v58, 0xbcab, v13
	v_sub_f16_e64 v188, v166, v55
	v_add_f16_e64 v190, v18, v168
	v_add_f16_e64 v55, v55, v166
	v_sub_f16_e64 v18, v168, v18
	v_add_f16_e64 v166, v181, v163
	v_sub_f16_e64 v168, v165, v180
	v_fmac_f16_e64 v182, 0x370e, v167
	v_fmac_f16_e64 v183, 0x370e, v67
	;; [unrolled: 1-line block ×3, first 2 shown]
	v_fmac_f16_e32 v65, 0x370e, v67
	v_fmac_f16_e64 v63, 0x370e, v167
	v_fmac_f16_e32 v66, 0x370e, v67
	v_pack_b32_f16 v67, v184, v185
	v_pack_b32_f16 v19, v56, v19
	;; [unrolled: 1-line block ×4, first 2 shown]
	v_add_f16_e32 v23, v61, v17
	v_add_f16_e64 v56, v174, v58
	v_add_f16_e64 v57, v175, v17
	;; [unrolled: 1-line block ×5, first 2 shown]
	v_pack_b32_f16 v163, v186, v187
	v_pack_b32_f16 v165, v188, v190
	;; [unrolled: 1-line block ×7, first 2 shown]
	ds_store_2addr_b32 v144, v14, v67 offset1:54
	ds_store_2addr_b32 v144, v163, v165 offset0:108 offset1:162
	ds_store_2addr_b32 v176, v18, v20 offset0:88 offset1:142
	ds_store_b32 v144, v22 offset:1296
	v_add_f16_e64 v186, v183, v23
	v_sub_f16_e64 v187, v56, v182
	v_add_f16_e64 v163, v66, v17
	v_sub_f16_e64 v168, v58, v63
	v_sub_f16_e64 v165, v57, v65
	v_add_f16_e64 v167, v64, v61
	v_add_f16_e64 v166, v65, v57
	v_sub_f16_e64 v169, v61, v64
	v_sub_f16_e64 v170, v17, v66
	v_add_f16_e64 v171, v63, v58
	v_sub_f16_e64 v172, v23, v183
	v_add_f16_e64 v173, v182, v56
	v_and_b32_e32 v151, 0xffff, v62
	v_pack_b32_f16 v180, v189, v191
	ds_store_2addr_b32 v143, v15, v55 offset1:54
	ds_store_2addr_b32 v143, v68, v180 offset0:108 offset1:162
	ds_store_2addr_b32 v177, v19, v16 offset0:88 offset1:142
	ds_store_b32 v143, v21 offset:1296
	s_and_saveexec_b32 s1, s0
	s_cbranch_execz .LBB0_11
; %bb.10:
	v_lshlrev_b32_e32 v14, 2, v151
	v_perm_b32 v12, v13, v12, 0x5040100
	v_perm_b32 v13, v187, v186, 0x5040100
	;; [unrolled: 1-line block ×4, first 2 shown]
	v_add_nc_u32_e32 v17, 0x1600, v14
	v_add_nc_u32_e32 v18, 0x1800, v14
	v_perm_b32 v19, v169, v166, 0x5040100
	v_perm_b32 v20, v171, v170, 0x5040100
	;; [unrolled: 1-line block ×3, first 2 shown]
	ds_store_2addr_b32 v17, v12, v13 offset0:104 offset1:158
	ds_store_2addr_b32 v18, v15, v16 offset0:84 offset1:138
	;; [unrolled: 1-line block ×3, first 2 shown]
	ds_store_b32 v14, v21 offset:7344
.LBB0_11:
	s_wait_alu 0xfffe
	s_or_b32 exec_lo, exec_lo, s1
	v_lshlrev_b32_e32 v12, 4, v60
	global_wb scope:SCOPE_SE
	s_wait_dscnt 0x0
	s_barrier_signal -1
	s_barrier_wait -1
	global_inv scope:SCOPE_SE
	global_load_b128 v[12:15], v12, s[2:3] offset:1504
	v_add_nc_u32_e32 v57, 0x600, v69
	v_add_nc_u32_e32 v56, 0xe00, v69
	;; [unrolled: 1-line block ×4, first 2 shown]
	ds_load_b32 v16, v69 offset:7056
	ds_load_2addr_b32 v[60:61], v57 offset0:120 offset1:246
	ds_load_2addr_b32 v[62:63], v56 offset0:112 offset1:238
	ds_load_2addr_b32 v[64:65], v55 offset0:108 offset1:234
	ds_load_2addr_b32 v[66:67], v58 offset0:124 offset1:250
	s_wait_dscnt 0x3
	v_lshrrev_b32_e32 v18, 16, v61
	s_wait_dscnt 0x2
	v_lshrrev_b32_e32 v19, 16, v62
	v_lshrrev_b32_e32 v17, 16, v16
	s_wait_dscnt 0x1
	v_lshrrev_b32_e32 v20, 16, v65
	s_wait_dscnt 0x0
	v_lshrrev_b32_e32 v68, 16, v66
	v_lshrrev_b32_e32 v206, 16, v67
	;; [unrolled: 1-line block ×4, first 2 shown]
	s_wait_loadcnt 0x0
	v_lshrrev_b32_e32 v174, 16, v15
	v_lshrrev_b32_e32 v177, 16, v12
	;; [unrolled: 1-line block ×4, first 2 shown]
	s_delay_alu instid0(VALU_DEP_4) | instskip(NEXT) | instid1(VALU_DEP_4)
	v_mul_f16_e64 v21, v17, v174
	v_mul_f16_e64 v22, v18, v177
	s_delay_alu instid0(VALU_DEP_4) | instskip(NEXT) | instid1(VALU_DEP_4)
	v_mul_f16_e64 v23, v19, v176
	v_mul_f16_e64 v178, v20, v175
	;; [unrolled: 1-line block ×6, first 2 shown]
	v_fma_f16 v194, v16, v15, -v21
	v_fma_f16 v62, v62, v13, -v23
	;; [unrolled: 1-line block ×4, first 2 shown]
	v_fmac_f16_e64 v190, v17, v15
	v_fmac_f16_e64 v191, v18, v12
	;; [unrolled: 1-line block ×4, first 2 shown]
	v_add_f16_e32 v16, v62, v65
	v_add_f16_e64 v17, v195, v194
	v_add_f16_e64 v196, v66, v195
	v_sub_f16_e64 v18, v62, v195
	v_sub_f16_e64 v19, v65, v194
	v_add_f16_e64 v20, v192, v193
	v_add_f16_e64 v21, v191, v190
	v_sub_f16_e64 v22, v192, v191
	v_sub_f16_e64 v23, v193, v190
	v_fma_f16 v188, -0.5, v16, v66
	v_fmac_f16_e32 v66, -0.5, v17
	v_lshlrev_b32_e32 v17, 4, v90
	v_lshlrev_b32_e32 v16, 4, v59
	v_add_f16_e64 v197, v68, v191
	v_fma_f16 v189, -0.5, v20, v68
	v_fmac_f16_e32 v68, -0.5, v21
	v_add_f16_e64 v200, v18, v19
	v_add_f16_e64 v201, v22, v23
	s_clause 0x1
	global_load_b128 v[20:23], v17, s[2:3] offset:1504
	global_load_b128 v[16:19], v16, s[2:3] offset:1504
	v_sub_f16_e64 v198, v192, v193
	v_sub_f16_e64 v199, v62, v65
	;; [unrolled: 1-line block ×4, first 2 shown]
	s_add_nc_u64 s[2:3], s[16:17], 0x1d88
	v_fma_f16 v202, 0xbb9c, v198, v66
	v_fmac_f16_e64 v66, 0x3b9c, v198
	v_fma_f16 v203, 0x3b9c, v199, v68
	v_fmac_f16_e64 v68, 0xbb9c, v199
	s_delay_alu instid0(VALU_DEP_4) | instskip(NEXT) | instid1(VALU_DEP_4)
	v_fmac_f16_e64 v202, 0x38b4, v204
	v_fmac_f16_e64 v66, 0xb8b4, v204
	s_delay_alu instid0(VALU_DEP_4) | instskip(NEXT) | instid1(VALU_DEP_4)
	v_fmac_f16_e64 v203, 0xb8b4, v205
	;; [unrolled: 3-line block ×4, first 2 shown]
	v_fmac_f16_e64 v68, 0x34f2, v201
	s_delay_alu instid0(VALU_DEP_1)
	v_pack_b32_f16 v66, v66, v68
	v_lshrrev_b32_e32 v68, 16, v63
	s_wait_loadcnt 0x1
	v_lshrrev_b32_e32 v183, 16, v20
	v_lshrrev_b32_e32 v181, 16, v22
	s_wait_loadcnt 0x0
	v_lshrrev_b32_e32 v178, 16, v16
	v_lshrrev_b32_e32 v184, 16, v21
	;; [unrolled: 1-line block ×3, first 2 shown]
	v_mul_f16_e64 v59, v206, v183
	v_lshrrev_b32_e32 v179, 16, v17
	v_mul_f16_e64 v211, v60, v178
	v_lshrrev_b32_e32 v185, 16, v23
	s_delay_alu instid0(VALU_DEP_4) | instskip(SKIP_3) | instid1(VALU_DEP_3)
	v_fma_f16 v207, v67, v20, -v59
	v_mul_f16_e64 v59, v68, v181
	v_mul_f16_e64 v67, v67, v183
	v_fmac_f16_e64 v211, v209, v16
	v_fma_f16 v208, v63, v22, -v59
	v_mul_f16_e64 v59, v209, v178
	v_mul_f16_e64 v63, v63, v181
	v_fmac_f16_e64 v67, v206, v20
	s_delay_alu instid0(VALU_DEP_3) | instskip(SKIP_1) | instid1(VALU_DEP_4)
	v_fma_f16 v210, v60, v16, -v59
	v_add_nc_u32_e32 v59, 0xa00, v69
	v_fmac_f16_e32 v63, v68, v22
	ds_load_2addr_b32 v[59:60], v59 offset0:116 offset1:242
	s_wait_dscnt 0x0
	v_lshrrev_b32_e32 v212, 16, v59
	v_lshrrev_b32_e32 v214, 16, v60
	v_mul_f16_e64 v216, v59, v184
	v_mul_f16_e64 v217, v60, v179
	s_delay_alu instid0(VALU_DEP_4) | instskip(NEXT) | instid1(VALU_DEP_3)
	v_mul_f16_e64 v61, v212, v184
	v_fmac_f16_e64 v216, v212, v21
	s_delay_alu instid0(VALU_DEP_3) | instskip(NEXT) | instid1(VALU_DEP_3)
	v_fmac_f16_e64 v217, v214, v17
	v_fma_f16 v213, v59, v21, -v61
	v_mul_f16_e64 v59, v218, v180
	v_mul_f16_e64 v61, v214, v179
	s_delay_alu instid0(VALU_DEP_3) | instskip(NEXT) | instid1(VALU_DEP_3)
	v_sub_f16_e64 v233, v207, v213
	v_fma_f16 v219, v64, v18, -v59
	v_add_nc_u32_e32 v59, 0x1600, v69
	s_delay_alu instid0(VALU_DEP_4)
	v_fma_f16 v215, v60, v17, -v61
	v_mul_f16_e64 v64, v64, v180
	v_add_f16_e64 v231, v213, v208
	ds_load_2addr_b32 v[60:61], v59 offset0:104 offset1:230
	v_add_f16_e64 v68, v215, v219
	v_fmac_f16_e64 v64, v218, v18
	v_sub_f16_e64 v227, v215, v219
	s_wait_dscnt 0x0
	v_lshrrev_b32_e32 v220, 16, v60
	v_lshrrev_b32_e32 v222, 16, v61
	v_mul_f16_e64 v224, v60, v185
	s_delay_alu instid0(VALU_DEP_3) | instskip(NEXT) | instid1(VALU_DEP_2)
	v_mul_f16_e64 v182, v220, v185
	v_fmac_f16_e64 v224, v220, v23
	s_delay_alu instid0(VALU_DEP_2) | instskip(SKIP_1) | instid1(VALU_DEP_3)
	v_fma_f16 v221, v60, v23, -v182
	v_lshrrev_b32_e32 v182, 16, v19
	v_sub_f16_e64 v236, v224, v63
	v_add_f16_e64 v237, v67, v224
	v_sub_f16_e64 v239, v63, v224
	v_sub_f16_e64 v234, v221, v208
	v_mul_f16_e64 v223, v222, v182
	v_mul_f16_e64 v225, v61, v182
	v_add_f16_e64 v232, v207, v221
	v_sub_f16_e64 v235, v208, v221
	v_add_f16_e64 v233, v233, v234
	v_fma_f16 v223, v61, v19, -v223
	ds_load_2addr_b32 v[60:61], v69 offset1:126
	v_fmac_f16_e64 v225, v222, v19
	v_sub_f16_e64 v234, v213, v207
	v_add_f16_e64 v206, v210, v223
	v_sub_f16_e64 v214, v219, v223
	s_delay_alu instid0(VALU_DEP_4)
	v_add_f16_e64 v218, v211, v225
	v_sub_f16_e64 v222, v64, v225
	v_sub_f16_e64 v229, v211, v225
	;; [unrolled: 1-line block ×3, first 2 shown]
	v_add_f16_e64 v234, v234, v235
	v_sub_f16_e64 v235, v67, v216
	s_delay_alu instid0(VALU_DEP_1)
	v_add_f16_e64 v235, v235, v236
	v_add_f16_e64 v236, v216, v63
	s_wait_dscnt 0x0
	v_fma_f16 v68, -0.5, v68, v61
	v_lshrrev_b32_e32 v209, 16, v61
	v_add_f16_e64 v212, v61, v210
	v_fmac_f16_e64 v61, -0.5, v206
	v_sub_f16_e64 v206, v215, v210
	v_fma_f16 v231, -0.5, v231, v60
	v_add_f16_e64 v220, v209, v211
	v_fma_f16 v232, -0.5, v232, v60
	s_delay_alu instid0(VALU_DEP_4) | instskip(SKIP_1) | instid1(VALU_DEP_1)
	v_add_f16_e64 v206, v206, v214
	v_add_f16_e64 v214, v217, v64
	v_fma_f16 v214, -0.5, v214, v209
	v_fmac_f16_e64 v209, -0.5, v218
	v_sub_f16_e64 v218, v217, v211
	s_delay_alu instid0(VALU_DEP_2) | instskip(NEXT) | instid1(VALU_DEP_2)
	v_fma_f16 v228, 0x3b9c, v227, v209
	v_add_f16_e64 v218, v218, v222
	v_sub_f16_e64 v222, v217, v64
	v_fmac_f16_e64 v209, 0xbb9c, v227
	s_delay_alu instid0(VALU_DEP_4) | instskip(NEXT) | instid1(VALU_DEP_3)
	v_fmac_f16_e64 v228, 0xb8b4, v230
	v_fma_f16 v226, 0xbb9c, v222, v61
	v_fmac_f16_e64 v61, 0x3b9c, v222
	s_delay_alu instid0(VALU_DEP_4) | instskip(NEXT) | instid1(VALU_DEP_4)
	v_fmac_f16_e64 v209, 0x38b4, v230
	v_fmac_f16_e64 v228, 0x34f2, v218
	s_delay_alu instid0(VALU_DEP_4) | instskip(NEXT) | instid1(VALU_DEP_4)
	v_fmac_f16_e64 v226, 0x38b4, v229
	v_fmac_f16_e64 v61, 0xb8b4, v229
	s_delay_alu instid0(VALU_DEP_4) | instskip(NEXT) | instid1(VALU_DEP_3)
	v_fmac_f16_e64 v209, 0x34f2, v218
	v_fmac_f16_e64 v226, 0x34f2, v206
	s_delay_alu instid0(VALU_DEP_3) | instskip(NEXT) | instid1(VALU_DEP_1)
	v_fmac_f16_e64 v61, 0x34f2, v206
	v_pack_b32_f16 v61, v61, v209
	v_lshrrev_b32_e32 v209, 16, v60
	v_add_f16_e64 v60, v60, v207
	v_sub_f16_e64 v207, v207, v221
	s_delay_alu instid0(VALU_DEP_3) | instskip(NEXT) | instid1(VALU_DEP_3)
	v_add_f16_e64 v238, v209, v67
	v_add_f16_e64 v60, v60, v213
	v_fma_f16 v236, -0.5, v236, v209
	v_fmac_f16_e64 v209, -0.5, v237
	v_sub_f16_e64 v237, v216, v67
	v_sub_f16_e64 v213, v213, v208
	v_add_f16_e64 v60, v60, v208
	v_add_f16_e64 v208, v238, v216
	v_sub_f16_e64 v67, v67, v224
	v_sub_f16_e64 v216, v216, v63
	v_add_f16_e64 v237, v237, v239
	v_add_f16_e64 v60, v60, v221
	;; [unrolled: 1-line block ×3, first 2 shown]
	v_fma_f16 v208, 0x3b9c, v67, v231
	v_fmac_f16_e64 v231, 0xbb9c, v67
	v_fma_f16 v221, 0xbb9c, v216, v232
	v_fmac_f16_e64 v232, 0x3b9c, v216
	v_add_f16_e64 v63, v63, v224
	v_fmac_f16_e64 v208, 0x38b4, v216
	v_fmac_f16_e64 v231, 0xb8b4, v216
	v_fma_f16 v216, 0x3b9c, v213, v209
	v_fmac_f16_e64 v209, 0xbb9c, v213
	v_fmac_f16_e64 v232, 0xb8b4, v67
	v_fmac_f16_e64 v221, 0x38b4, v67
	v_fma_f16 v67, 0xbb9c, v207, v236
	v_fmac_f16_e64 v236, 0x3b9c, v207
	v_fmac_f16_e64 v209, 0x38b4, v207
	;; [unrolled: 1-line block ×11, first 2 shown]
	v_pack_b32_f16 v207, v232, v209
	v_add_f16_e64 v209, v212, v215
	v_add_f16_e64 v212, v220, v217
	v_fmac_f16_e64 v231, 0x34f2, v233
	v_fmac_f16_e64 v236, 0x34f2, v235
	v_pack_b32_f16 v60, v60, v63
	v_add_f16_e64 v209, v209, v219
	v_add_f16_e64 v212, v212, v64
	v_pack_b32_f16 v63, v208, v67
	v_pack_b32_f16 v67, v221, v216
	;; [unrolled: 1-line block ×3, first 2 shown]
	v_add_f16_e64 v209, v209, v223
	v_add_f16_e64 v212, v212, v225
	v_sub_f16_e64 v64, v225, v64
	s_delay_alu instid0(VALU_DEP_2)
	v_pack_b32_f16 v209, v209, v212
	ds_store_b32 v69, v63 offset:1512
	ds_store_b32 v69, v67 offset:3024
	ds_store_b32 v69, v207 offset:4536
	ds_store_b32 v69, v208 offset:6048
	ds_store_2addr_b32 v69, v60, v209 offset1:126
	v_sub_f16_e64 v60, v210, v215
	v_sub_f16_e64 v63, v223, v219
	;; [unrolled: 1-line block ×3, first 2 shown]
	s_delay_alu instid0(VALU_DEP_2) | instskip(NEXT) | instid1(VALU_DEP_2)
	v_add_f16_e32 v60, v60, v63
	v_add_f16_e32 v63, v67, v64
	v_sub_f16_e64 v64, v195, v62
	v_sub_f16_e64 v67, v194, v65
	v_add_f16_e64 v62, v196, v62
	s_delay_alu instid0(VALU_DEP_2) | instskip(SKIP_4) | instid1(VALU_DEP_3)
	v_add_f16_e32 v64, v64, v67
	v_sub_f16_e64 v67, v191, v192
	v_add_f16_e64 v191, v197, v192
	v_sub_f16_e64 v192, v190, v193
	v_add_f16_e32 v62, v62, v65
	v_add_f16_e64 v65, v191, v193
	s_delay_alu instid0(VALU_DEP_3)
	v_add_f16_e64 v67, v67, v192
	v_fma_f16 v191, 0x3b9c, v229, v68
	v_fmac_f16_e64 v68, 0xbb9c, v229
	v_fma_f16 v192, 0xbb9c, v230, v214
	v_fmac_f16_e64 v214, 0x3b9c, v230
	v_add_f16_e64 v65, v65, v190
	v_fma_f16 v190, 0x3b9c, v204, v188
	v_fma_f16 v193, 0xbb9c, v205, v189
	v_fmac_f16_e64 v68, 0xb8b4, v222
	v_fmac_f16_e64 v214, 0x38b4, v227
	;; [unrolled: 1-line block ×10, first 2 shown]
	v_fmac_f16_e32 v68, 0x34f2, v60
	v_fmac_f16_e64 v214, 0x34f2, v63
	v_add_f16_e64 v62, v62, v194
	v_fmac_f16_e64 v191, 0x34f2, v60
	v_fmac_f16_e64 v192, 0x34f2, v63
	;; [unrolled: 1-line block ×6, first 2 shown]
	v_pack_b32_f16 v63, v68, v214
	v_pack_b32_f16 v64, v226, v228
	;; [unrolled: 1-line block ×7, first 2 shown]
	ds_store_b32 v69, v63 offset:6552
	ds_store_b32 v69, v61 offset:5040
	;; [unrolled: 1-line block ×4, first 2 shown]
	ds_store_2addr_b32 v57, v62, v65 offset0:120 offset1:246
	ds_store_b32 v69, v67 offset:4032
	ds_store_b32 v69, v66 offset:5544
	;; [unrolled: 1-line block ×3, first 2 shown]
	global_wb scope:SCOPE_SE
	s_wait_dscnt 0x0
	s_barrier_signal -1
	s_barrier_wait -1
	global_inv scope:SCOPE_SE
	global_load_b32 v62, v[24:25], off offset:7560
	ds_load_2addr_b32 v[60:61], v69 offset1:126
	s_clause 0x4
	global_load_b32 v68, v69, s[2:3] offset:2016
	global_load_b32 v194, v69, s[2:3] offset:2520
	;; [unrolled: 1-line block ×5, first 2 shown]
	s_wait_dscnt 0x0
	v_lshrrev_b32_e32 v64, 16, v60
	s_wait_loadcnt 0x5
	v_lshrrev_b32_e32 v63, 16, v62
	s_delay_alu instid0(VALU_DEP_1) | instskip(NEXT) | instid1(VALU_DEP_3)
	v_mul_f16_e32 v65, v60, v63
	v_mul_f16_e32 v63, v64, v63
	s_delay_alu instid0(VALU_DEP_2) | instskip(NEXT) | instid1(VALU_DEP_2)
	v_fmac_f16_e32 v65, v64, v62
	v_fma_f16 v60, v60, v62, -v63
	global_load_b32 v62, v69, s[2:3] offset:3780
	v_pack_b32_f16 v60, v60, v65
	ds_store_b32 v69, v60
	v_add_nc_u32_e32 v60, 0xb00, v69
	ds_load_2addr_b32 v[64:65], v60 offset0:52 offset1:241
	s_clause 0x5
	global_load_b32 v192, v69, s[2:3] offset:4284
	global_load_b32 v193, v69, s[2:3] offset:4788
	;; [unrolled: 1-line block ×6, first 2 shown]
	s_wait_dscnt 0x0
	v_lshrrev_b32_e32 v66, 16, v65
	s_wait_loadcnt 0x6
	v_lshrrev_b32_e32 v63, 16, v62
	s_delay_alu instid0(VALU_DEP_1) | instskip(NEXT) | instid1(VALU_DEP_3)
	v_mul_f16_e64 v190, v65, v63
	v_mul_f16_e64 v191, v66, v63
	v_add_nc_u32_e32 v63, 0x1000, v69
	s_delay_alu instid0(VALU_DEP_3) | instskip(NEXT) | instid1(VALU_DEP_3)
	v_fmac_f16_e64 v190, v66, v62
	v_fma_f16 v62, v65, v62, -v191
	ds_load_2addr_b32 v[66:67], v63 offset0:47 offset1:173
	s_wait_loadcnt 0x5
	v_lshrrev_b32_e32 v202, 16, v192
	v_pack_b32_f16 v62, v62, v190
	s_wait_dscnt 0x0
	v_lshrrev_b32_e32 v203, 16, v66
	s_delay_alu instid0(VALU_DEP_3) | instskip(NEXT) | instid1(VALU_DEP_2)
	v_mul_f16_e64 v204, v66, v202
	v_mul_f16_e64 v202, v203, v202
	s_delay_alu instid0(VALU_DEP_2) | instskip(NEXT) | instid1(VALU_DEP_2)
	v_fmac_f16_e64 v204, v203, v192
	v_fma_f16 v65, v66, v192, -v202
	s_delay_alu instid0(VALU_DEP_1) | instskip(SKIP_4) | instid1(VALU_DEP_1)
	v_pack_b32_f16 v65, v65, v204
	ds_store_2addr_b32 v56, v62, v65 offset0:49 offset1:175
	s_wait_loadcnt 0x4
	v_lshrrev_b32_e32 v56, 16, v193
	v_lshrrev_b32_e32 v62, 16, v67
	v_mul_f16_e32 v65, v62, v56
	v_mul_f16_e32 v56, v67, v56
	s_delay_alu instid0(VALU_DEP_2) | instskip(SKIP_1) | instid1(VALU_DEP_3)
	v_fma_f16 v190, v67, v193, -v65
	v_add_nc_u32_e32 v65, 0x1400, v69
	v_fmac_f16_e64 v56, v62, v193
	s_wait_loadcnt 0x3
	v_lshrrev_b32_e32 v62, 16, v198
	v_lshrrev_b32_e32 v193, 16, v68
	ds_load_2addr_b32 v[66:67], v65 offset0:43 offset1:169
	v_pack_b32_f16 v56, v190, v56
	s_wait_dscnt 0x0
	v_lshrrev_b32_e32 v191, 16, v66
	v_mul_f16_e64 v192, v66, v62
	s_delay_alu instid0(VALU_DEP_2) | instskip(NEXT) | instid1(VALU_DEP_2)
	v_mul_f16_e64 v62, v191, v62
	v_fmac_f16_e64 v192, v191, v198
	s_delay_alu instid0(VALU_DEP_2) | instskip(NEXT) | instid1(VALU_DEP_1)
	v_fma_f16 v62, v66, v198, -v62
	v_pack_b32_f16 v62, v62, v192
	ds_store_2addr_b32 v55, v56, v62 offset0:45 offset1:171
	global_load_b32 v62, v69, s[2:3] offset:1512
	ds_load_2addr_b32 v[55:56], v58 offset0:124 offset1:250
	s_wait_dscnt 0x0
	v_lshrrev_b32_e32 v190, 16, v56
	s_wait_loadcnt 0x0
	v_lshrrev_b32_e32 v66, 16, v62
	s_delay_alu instid0(VALU_DEP_1) | instskip(NEXT) | instid1(VALU_DEP_3)
	v_mul_f16_e64 v192, v56, v66
	v_mul_f16_e64 v66, v190, v66
	s_delay_alu instid0(VALU_DEP_2) | instskip(SKIP_3) | instid1(VALU_DEP_2)
	v_fmac_f16_e64 v192, v190, v62
	ds_load_2addr_b32 v[190:191], v57 offset0:120 offset1:246
	v_fma_f16 v56, v56, v62, -v66
	v_add_nc_u32_e32 v66, 0x400, v69
	v_pack_b32_f16 v56, v56, v192
	s_wait_dscnt 0x0
	v_lshrrev_b32_e32 v198, 16, v190
	v_mul_f16_e64 v202, v190, v193
	s_delay_alu instid0(VALU_DEP_2) | instskip(NEXT) | instid1(VALU_DEP_2)
	v_mul_f16_e64 v193, v198, v193
	v_fmac_f16_e64 v202, v198, v68
	s_delay_alu instid0(VALU_DEP_2) | instskip(NEXT) | instid1(VALU_DEP_1)
	v_fma_f16 v62, v190, v68, -v193
	v_pack_b32_f16 v62, v62, v202
	ds_store_2addr_b32 v66, v56, v62 offset0:122 offset1:248
	v_lshrrev_b32_e32 v56, 16, v199
	v_lshrrev_b32_e32 v62, 16, v67
	s_delay_alu instid0(VALU_DEP_1) | instskip(SKIP_1) | instid1(VALU_DEP_2)
	v_mul_f16_e32 v66, v62, v56
	v_mul_f16_e32 v56, v67, v56
	v_fma_f16 v66, v67, v199, -v66
	v_add_nc_u32_e32 v67, 0x1800, v69
	s_delay_alu instid0(VALU_DEP_3)
	v_fmac_f16_e64 v56, v62, v199
	v_lshrrev_b32_e32 v62, 16, v200
	ds_load_2addr_b32 v[192:193], v67 offset0:39 offset1:165
	v_pack_b32_f16 v56, v66, v56
	s_wait_dscnt 0x0
	v_lshrrev_b32_e32 v68, 16, v192
	v_mul_f16_e64 v190, v192, v62
	s_delay_alu instid0(VALU_DEP_2) | instskip(NEXT) | instid1(VALU_DEP_2)
	v_mul_f16_e32 v62, v68, v62
	v_fmac_f16_e64 v190, v68, v200
	v_lshrrev_b32_e32 v68, 16, v64
	s_delay_alu instid0(VALU_DEP_3) | instskip(NEXT) | instid1(VALU_DEP_1)
	v_fma_f16 v62, v192, v200, -v62
	v_pack_b32_f16 v62, v62, v190
	ds_store_2addr_b32 v59, v56, v62 offset0:41 offset1:167
	v_lshrrev_b32_e32 v56, 16, v61
	v_lshrrev_b32_e32 v59, 16, v196
	s_delay_alu instid0(VALU_DEP_1) | instskip(SKIP_1) | instid1(VALU_DEP_2)
	v_mul_f16_e32 v62, v56, v59
	v_mul_f16_e32 v59, v61, v59
	v_fma_f16 v61, v61, v196, -v62
	s_delay_alu instid0(VALU_DEP_2) | instskip(SKIP_2) | instid1(VALU_DEP_3)
	v_fmac_f16_e64 v59, v56, v196
	v_lshrrev_b32_e32 v56, 16, v194
	v_lshrrev_b32_e32 v62, 16, v191
	v_pack_b32_f16 v59, v61, v59
	s_delay_alu instid0(VALU_DEP_2) | instskip(SKIP_1) | instid1(VALU_DEP_2)
	v_mul_f16_e32 v66, v62, v56
	v_mul_f16_e64 v56, v191, v56
	v_fma_f16 v66, v191, v194, -v66
	s_delay_alu instid0(VALU_DEP_2) | instskip(SKIP_1) | instid1(VALU_DEP_2)
	v_fmac_f16_e64 v56, v62, v194
	v_lshrrev_b32_e32 v62, 16, v195
	v_pack_b32_f16 v56, v66, v56
	s_delay_alu instid0(VALU_DEP_2) | instskip(SKIP_1) | instid1(VALU_DEP_2)
	v_mul_f16_e64 v190, v68, v62
	v_mul_f16_e32 v62, v64, v62
	v_fma_f16 v64, v64, v195, -v190
	s_delay_alu instid0(VALU_DEP_2) | instskip(SKIP_2) | instid1(VALU_DEP_3)
	v_fmac_f16_e64 v62, v68, v195
	v_lshrrev_b32_e32 v68, 16, v197
	v_lshrrev_b32_e32 v190, 16, v55
	v_pack_b32_f16 v61, v64, v62
	v_add_nc_u32_e32 v62, 0x800, v69
	s_delay_alu instid0(VALU_DEP_3) | instskip(SKIP_1) | instid1(VALU_DEP_2)
	v_mul_f16_e64 v191, v190, v68
	v_mul_f16_e32 v68, v55, v68
	v_fma_f16 v55, v55, v197, -v191
	s_delay_alu instid0(VALU_DEP_2) | instskip(SKIP_2) | instid1(VALU_DEP_3)
	v_fmac_f16_e64 v68, v190, v197
	v_lshrrev_b32_e32 v190, 16, v201
	v_lshrrev_b32_e32 v191, 16, v193
	v_pack_b32_f16 v55, v55, v68
	s_delay_alu instid0(VALU_DEP_2) | instskip(SKIP_1) | instid1(VALU_DEP_2)
	v_mul_f16_e64 v192, v191, v190
	v_mul_f16_e64 v190, v193, v190
	v_fma_f16 v192, v193, v201, -v192
	s_delay_alu instid0(VALU_DEP_2) | instskip(NEXT) | instid1(VALU_DEP_1)
	v_fmac_f16_e64 v190, v191, v201
	v_pack_b32_f16 v64, v192, v190
	ds_store_2addr_b32 v62, v56, v61 offset0:118 offset1:244
	ds_store_2addr_b32 v69, v59, v55 offset0:126 offset1:252
	ds_store_b32 v69, v64 offset:6804
	s_and_saveexec_b32 s1, vcc_lo
	s_cbranch_execz .LBB0_13
; %bb.12:
	s_wait_alu 0xfffe
	v_add_co_u32 v55, s2, s2, v69
	s_wait_alu 0xf1ff
	v_add_co_ci_u32_e64 v56, null, s3, 0, s2
	s_clause 0x1
	global_load_b32 v59, v[55:56], off offset:3528
	global_load_b32 v55, v[55:56], off offset:7308
	ds_load_b32 v56, v69 offset:3528
	ds_load_b32 v61, v69 offset:7308
	s_wait_dscnt 0x1
	v_lshrrev_b32_e32 v62, 16, v56
	s_wait_dscnt 0x0
	v_lshrrev_b32_e32 v66, 16, v61
	s_wait_loadcnt 0x1
	v_lshrrev_b32_e32 v64, 16, v59
	s_wait_loadcnt 0x0
	v_lshrrev_b32_e32 v68, 16, v55
	s_delay_alu instid0(VALU_DEP_2) | instskip(SKIP_1) | instid1(VALU_DEP_3)
	v_mul_f16_e64 v190, v62, v64
	v_mul_f16_e32 v64, v56, v64
	v_mul_f16_e64 v191, v66, v68
	v_mul_f16_e32 v68, v61, v68
	s_delay_alu instid0(VALU_DEP_4) | instskip(NEXT) | instid1(VALU_DEP_4)
	v_fma_f16 v56, v56, v59, -v190
	v_fmac_f16_e32 v64, v62, v59
	s_delay_alu instid0(VALU_DEP_4) | instskip(NEXT) | instid1(VALU_DEP_4)
	v_fma_f16 v59, v61, v55, -v191
	v_fmac_f16_e32 v68, v66, v55
	s_delay_alu instid0(VALU_DEP_3) | instskip(NEXT) | instid1(VALU_DEP_2)
	v_pack_b32_f16 v55, v56, v64
	v_pack_b32_f16 v56, v59, v68
	ds_store_b32 v69, v55 offset:3528
	ds_store_b32 v69, v56 offset:7308
.LBB0_13:
	s_wait_alu 0xfffe
	s_or_b32 exec_lo, exec_lo, s1
	global_wb scope:SCOPE_SE
	s_wait_dscnt 0x0
	s_barrier_signal -1
	s_barrier_wait -1
	global_inv scope:SCOPE_SE
	ds_load_2addr_b32 v[61:62], v69 offset1:126
	ds_load_2addr_b32 v[55:56], v60 offset0:52 offset1:241
	ds_load_2addr_b32 v[63:64], v63 offset0:47 offset1:173
	;; [unrolled: 1-line block ×6, first 2 shown]
	v_add_nc_u32_e32 v190, 0x13b0, v105
	v_add_nc_u32_e32 v105, 0x17a0, v105
	s_and_saveexec_b32 s1, vcc_lo
	s_cbranch_execz .LBB0_15
; %bb.14:
	ds_load_b32 v188, v69 offset:3528
	ds_load_b32 v186, v69 offset:7308
	s_wait_dscnt 0x1
	v_lshrrev_b32_e32 v189, 16, v188
	s_wait_dscnt 0x0
	v_lshrrev_b32_e32 v187, 16, v186
.LBB0_15:
	s_wait_alu 0xfffe
	s_or_b32 exec_lo, exec_lo, s1
	s_wait_dscnt 0x5
	v_pk_add_f16 v192, v61, v56 neg_lo:[0,1] neg_hi:[0,1]
	s_wait_dscnt 0x4
	v_pk_add_f16 v194, v62, v63 neg_lo:[0,1] neg_hi:[0,1]
	;; [unrolled: 2-line block ×5, first 2 shown]
	v_pk_fma_f16 v191, v61, 2.0, v192 op_sel_hi:[1,0,1] neg_lo:[0,0,1] neg_hi:[0,0,1]
	v_pk_fma_f16 v193, v62, 2.0, v194 op_sel_hi:[1,0,1] neg_lo:[0,0,1] neg_hi:[0,0,1]
	s_wait_dscnt 0x0
	v_pk_add_f16 v67, v58, v67 neg_lo:[0,1] neg_hi:[0,1]
	v_pk_add_f16 v199, v55, v68 neg_lo:[0,1] neg_hi:[0,1]
	v_sub_f16_e64 v56, v188, v186
	v_sub_f16_e64 v63, v189, v187
	global_wb scope:SCOPE_SE
	s_barrier_signal -1
	s_barrier_wait -1
	global_inv scope:SCOPE_SE
	ds_store_b64 v102, v[191:192]
	ds_store_b64 v104, v[193:194]
	v_pk_fma_f16 v194, v59, 2.0, v195 op_sel_hi:[1,0,1] neg_lo:[0,0,1] neg_hi:[0,0,1]
	v_pk_fma_f16 v64, v60, 2.0, v65 op_sel_hi:[1,0,1] neg_lo:[0,0,1] neg_hi:[0,0,1]
	;; [unrolled: 1-line block ×5, first 2 shown]
	ds_store_b64 v99, v[194:195]
	ds_store_b64 v100, v[64:65]
	;; [unrolled: 1-line block ×5, first 2 shown]
	s_and_saveexec_b32 s1, vcc_lo
	s_cbranch_execz .LBB0_17
; %bb.16:
	v_fma_f16 v55, v188, 2.0, -v56
	v_fma_f16 v57, v189, 2.0, -v63
	v_perm_b32 v58, v63, v56, 0x5040100
	s_delay_alu instid0(VALU_DEP_2)
	v_pack_b32_f16 v57, v55, v57
	ds_store_b64 v101, v[57:58]
.LBB0_17:
	s_wait_alu 0xfffe
	s_or_b32 exec_lo, exec_lo, s1
	v_add_nc_u32_e32 v55, 0x600, v69
	global_wb scope:SCOPE_SE
	s_wait_dscnt 0x0
	s_barrier_signal -1
	s_barrier_wait -1
	global_inv scope:SCOPE_SE
	v_add_nc_u32_e32 v57, 0x1200, v69
	ds_load_2addr_b32 v[66:67], v55 offset0:120 offset1:246
	v_add_nc_u32_e32 v58, 0xa00, v69
	v_add_nc_u32_e32 v59, 0x200, v69
	;; [unrolled: 1-line block ×3, first 2 shown]
	ds_load_2addr_b32 v[99:100], v57 offset0:108 offset1:234
	v_add_nc_u32_e32 v61, 0xe00, v69
	ds_load_2addr_b32 v[101:102], v58 offset0:116 offset1:242
	ds_load_2addr_b32 v[64:65], v69 offset1:126
	ds_load_2addr_b32 v[103:104], v59 offset0:124 offset1:250
	ds_load_2addr_b32 v[186:187], v60 offset0:104 offset1:230
	;; [unrolled: 1-line block ×3, first 2 shown]
	ds_load_b32 v62, v69 offset:7056
	global_wb scope:SCOPE_SE
	s_wait_dscnt 0x0
	s_barrier_signal -1
	s_barrier_wait -1
	global_inv scope:SCOPE_SE
	v_lshrrev_b32_e32 v190, 16, v67
	v_mul_f16_e64 v203, v112, v67
	v_lshrrev_b32_e32 v200, 16, v66
	v_lshrrev_b32_e32 v191, 16, v99
	s_delay_alu instid0(VALU_DEP_4)
	v_mul_f16_e64 v201, v112, v190
	v_lshrrev_b32_e32 v192, 16, v101
	v_lshrrev_b32_e32 v193, 16, v100
	;; [unrolled: 1-line block ×3, first 2 shown]
	v_mul_f16_e64 v205, v111, v191
	v_fmac_f16_e64 v201, v27, v67
	v_mul_f16_e32 v67, v111, v99
	v_fma_f16 v190, v27, v190, -v203
	v_mul_f16_e64 v203, v112, v192
	v_fmac_f16_e64 v205, v28, v99
	v_mul_f16_e32 v99, v112, v101
	v_fma_f16 v67, v28, v191, -v67
	v_mul_f16_e64 v191, v111, v193
	v_lshrrev_b32_e32 v196, 16, v186
	v_lshrrev_b32_e32 v198, 16, v188
	v_fmac_f16_e64 v203, v27, v101
	v_mul_f16_e32 v101, v111, v100
	v_fma_f16 v99, v27, v192, -v99
	v_mul_f16_e64 v192, v112, v195
	v_fmac_f16_e64 v191, v28, v100
	v_mul_f16_e32 v100, v112, v102
	v_lshrrev_b32_e32 v199, 16, v187
	v_fma_f16 v101, v28, v193, -v101
	v_mul_f16_e64 v193, v111, v196
	v_fmac_f16_e64 v192, v27, v102
	v_mul_f16_e64 v102, v111, v186
	v_fma_f16 v100, v27, v195, -v100
	v_mul_f16_e64 v195, v112, v198
	v_lshrrev_b32_e32 v202, 16, v189
	v_lshrrev_b32_e32 v204, 16, v62
	v_fmac_f16_e64 v193, v28, v186
	v_mul_f16_e64 v186, v112, v188
	v_fma_f16 v102, v28, v196, -v102
	v_mul_f16_e64 v196, v111, v199
	v_fmac_f16_e64 v195, v27, v188
	v_mul_f16_e64 v188, v111, v187
	v_fma_f16 v186, v27, v198, -v186
	v_mul_f16_e64 v198, v112, v202
	;; [unrolled: 4-line block ×3, first 2 shown]
	v_mul_f16_e32 v111, v111, v62
	v_lshrrev_b32_e32 v68, 16, v64
	v_fmac_f16_e64 v198, v27, v189
	v_fma_f16 v27, v27, v202, -v112
	v_add_f16_e64 v112, v201, v205
	v_fmac_f16_e64 v188, v28, v62
	v_fma_f16 v28, v28, v204, -v111
	v_add_f16_e64 v111, v190, v67
	v_add_f16_e64 v62, v64, v201
	v_fma_f16 v64, -0.5, v112, v64
	v_sub_f16_e64 v112, v190, v67
	v_add_f16_e64 v189, v68, v190
	v_fmac_f16_e32 v68, -0.5, v111
	v_sub_f16_e64 v111, v201, v205
	v_lshrrev_b32_e32 v105, 16, v65
	v_fma_f16 v190, 0xbaee, v112, v64
	v_fmac_f16_e32 v64, 0x3aee, v112
	v_add_f16_e64 v67, v189, v67
	v_add_f16_e64 v112, v203, v191
	v_fma_f16 v189, 0x3aee, v111, v68
	v_fmac_f16_e32 v68, 0xbaee, v111
	v_add_f16_e32 v111, v99, v101
	v_add_f16_e64 v199, v65, v203
	v_fmac_f16_e32 v65, -0.5, v112
	v_sub_f16_e32 v112, v99, v101
	v_add_f16_e32 v99, v105, v99
	v_fmac_f16_e32 v105, -0.5, v111
	v_sub_f16_e64 v111, v203, v191
	v_lshrrev_b32_e32 v194, 16, v103
	v_add_f16_e64 v199, v199, v191
	v_fma_f16 v191, 0xbaee, v112, v65
	v_fmac_f16_e32 v65, 0x3aee, v112
	v_add_f16_e32 v99, v99, v101
	v_add_f16_e64 v101, v192, v193
	v_fmamk_f16 v112, v111, 0x3aee, v105
	v_fmac_f16_e32 v105, 0xbaee, v111
	v_add_f16_e32 v111, v100, v102
	v_add_f16_e64 v201, v103, v192
	v_fma_f16 v101, -0.5, v101, v103
	v_sub_f16_e32 v103, v100, v102
	v_add_f16_e64 v100, v194, v100
	v_fmac_f16_e64 v194, -0.5, v111
	v_sub_f16_e64 v111, v192, v193
	v_lshrrev_b32_e32 v197, 16, v104
	v_fma_f16 v192, 0xbaee, v103, v101
	v_fmac_f16_e32 v101, 0x3aee, v103
	v_add_f16_e32 v100, v100, v102
	v_add_f16_e64 v102, v195, v196
	v_fma_f16 v103, 0x3aee, v111, v194
	v_fmac_f16_e64 v194, 0xbaee, v111
	v_add_f16_e64 v111, v186, v187
	v_add_f16_e64 v201, v201, v193
	;; [unrolled: 1-line block ×3, first 2 shown]
	v_fmac_f16_e32 v104, -0.5, v102
	v_sub_f16_e64 v102, v186, v187
	v_add_f16_e64 v186, v197, v186
	v_fmac_f16_e64 v197, -0.5, v111
	v_sub_f16_e64 v111, v195, v196
	v_add_f16_e64 v62, v62, v205
	v_fma_f16 v195, 0xbaee, v102, v104
	v_fmac_f16_e32 v104, 0x3aee, v102
	v_add_f16_e64 v102, v186, v187
	v_add_f16_e64 v186, v198, v188
	v_fma_f16 v187, 0x3aee, v111, v197
	v_fmac_f16_e64 v197, 0xbaee, v111
	v_add_f16_e32 v111, v27, v28
	v_add_f16_e64 v193, v193, v196
	v_add_f16_e64 v196, v66, v198
	v_fmac_f16_e64 v66, -0.5, v186
	v_sub_f16_e64 v186, v27, v28
	v_add_f16_e64 v27, v200, v27
	v_fmac_f16_e64 v200, -0.5, v111
	v_sub_f16_e64 v111, v198, v188
	v_pack_b32_f16 v62, v62, v67
	v_pack_b32_f16 v67, v190, v189
	;; [unrolled: 1-line block ×5, first 2 shown]
	v_add_f16_e64 v188, v196, v188
	v_fma_f16 v196, 0xbaee, v186, v66
	v_add_f16_e32 v27, v27, v28
	v_fma_f16 v28, 0x3aee, v111, v200
	v_pack_b32_f16 v65, v65, v105
	v_fmac_f16_e64 v66, 0x3aee, v186
	v_fmac_f16_e64 v200, 0xbaee, v111
	v_pack_b32_f16 v100, v201, v100
	v_pack_b32_f16 v103, v192, v103
	ds_store_2addr_b32 v110, v62, v67 offset1:2
	ds_store_b32 v110, v64 offset:16
	ds_store_2addr_b32 v109, v68, v99 offset1:2
	ds_store_b32 v109, v65 offset:16
	ds_store_2addr_b32 v108, v100, v103 offset1:2
	v_pack_b32_f16 v62, v101, v194
	v_pack_b32_f16 v64, v193, v102
	;; [unrolled: 1-line block ×7, first 2 shown]
	ds_store_b32 v108, v62 offset:16
	ds_store_2addr_b32 v107, v64, v65 offset1:2
	ds_store_b32 v107, v67 offset:16
	ds_store_2addr_b32 v106, v27, v28 offset1:2
	ds_store_b32 v106, v66 offset:16
	global_wb scope:SCOPE_SE
	s_wait_dscnt 0x0
	s_barrier_signal -1
	s_barrier_wait -1
	global_inv scope:SCOPE_SE
	ds_load_2addr_b32 v[27:28], v69 offset1:126
	ds_load_2addr_b32 v[64:65], v55 offset0:120 offset1:246
	ds_load_2addr_b32 v[66:67], v57 offset0:108 offset1:234
	;; [unrolled: 1-line block ×6, first 2 shown]
	ds_load_b32 v62, v69 offset:7056
	global_wb scope:SCOPE_SE
	s_wait_dscnt 0x0
	s_barrier_signal -1
	s_barrier_wait -1
	global_inv scope:SCOPE_SE
	v_lshrrev_b32_e32 v68, 16, v27
	v_lshrrev_b32_e32 v107, 16, v65
	;; [unrolled: 1-line block ×6, first 2 shown]
	v_mul_f16_e64 v192, v132, v107
	v_mul_f16_e64 v132, v132, v65
	;; [unrolled: 1-line block ×3, first 2 shown]
	v_lshrrev_b32_e32 v187, 16, v103
	v_lshrrev_b32_e32 v189, 16, v105
	v_fmac_f16_e64 v192, v37, v65
	v_mul_f16_e64 v65, v131, v66
	v_fma_f16 v37, v37, v107, -v132
	v_mul_f16_e64 v107, v130, v110
	v_fmac_f16_e64 v195, v38, v66
	v_mul_f16_e64 v66, v130, v99
	v_fma_f16 v38, v38, v108, -v65
	v_mul_f16_e64 v65, v129, v111
	v_fmac_f16_e32 v107, v35, v99
	v_mul_f16_e64 v99, v129, v67
	v_fma_f16 v35, v35, v110, -v66
	v_mul_f16_e64 v66, v126, v186
	v_fmac_f16_e32 v65, v36, v67
	v_mul_f16_e32 v67, v126, v100
	v_fma_f16 v36, v36, v111, -v99
	v_mul_f16_e64 v99, v122, v187
	v_lshrrev_b32_e32 v190, 16, v104
	v_fmac_f16_e32 v66, v33, v100
	v_mul_f16_e32 v100, v122, v103
	v_lshrrev_b32_e32 v193, 16, v106
	v_fma_f16 v33, v33, v186, -v67
	v_mul_f16_e64 v67, v121, v189
	v_fmac_f16_e32 v99, v34, v103
	v_mul_f16_e32 v103, v121, v105
	v_fma_f16 v34, v34, v187, -v100
	v_mul_f16_e64 v100, v120, v190
	v_lshrrev_b32_e32 v194, 16, v62
	v_fmac_f16_e32 v67, v31, v105
	v_mul_f16_e32 v105, v120, v104
	v_fma_f16 v31, v31, v189, -v103
	v_mul_f16_e64 v103, v119, v193
	v_fmac_f16_e32 v100, v32, v104
	v_mul_f16_e32 v104, v119, v106
	v_fma_f16 v32, v32, v190, -v105
	v_mul_f16_e64 v105, v118, v194
	v_fmac_f16_e32 v103, v29, v106
	v_mul_f16_e32 v106, v118, v62
	v_fma_f16 v29, v29, v193, -v104
	v_add_f16_e64 v104, v192, v195
	v_fmac_f16_e32 v105, v30, v62
	v_add_f16_e64 v62, v27, v192
	v_fma_f16 v30, v30, v194, -v106
	v_add_f16_e32 v106, v37, v38
	v_fma_f16 v27, -0.5, v104, v27
	v_sub_f16_e32 v104, v37, v38
	v_add_f16_e32 v37, v68, v37
	v_lshrrev_b32_e32 v109, 16, v28
	v_fmac_f16_e32 v68, -0.5, v106
	v_sub_f16_e64 v106, v192, v195
	v_fmamk_f16 v108, v104, 0xbaee, v27
	v_add_f16_e32 v37, v37, v38
	v_add_f16_e32 v38, v107, v65
	v_fmac_f16_e32 v27, 0x3aee, v104
	v_fmamk_f16 v104, v106, 0x3aee, v68
	v_add_f16_e32 v110, v28, v107
	v_fmac_f16_e32 v68, 0xbaee, v106
	v_add_f16_e32 v106, v35, v36
	v_fmac_f16_e32 v28, -0.5, v38
	v_sub_f16_e32 v38, v35, v36
	v_add_f16_e32 v35, v109, v35
	v_add_f16_e32 v110, v110, v65
	v_fmac_f16_e32 v109, -0.5, v106
	v_sub_f16_e32 v65, v107, v65
	v_lshrrev_b32_e32 v112, 16, v101
	v_add_f16_e32 v35, v35, v36
	v_add_f16_e32 v36, v66, v99
	v_fmamk_f16 v106, v38, 0xbaee, v28
	v_fmac_f16_e32 v28, 0x3aee, v38
	v_fmamk_f16 v38, v65, 0x3aee, v109
	v_fmac_f16_e32 v109, 0xbaee, v65
	v_add_f16_e32 v65, v33, v34
	v_add_f16_e32 v107, v101, v66
	v_fma_f16 v36, -0.5, v36, v101
	v_sub_f16_e32 v101, v33, v34
	v_add_f16_e32 v33, v112, v33
	v_fmac_f16_e32 v112, -0.5, v65
	v_sub_f16_e32 v65, v66, v99
	v_lshrrev_b32_e32 v188, 16, v102
	v_add_f16_e32 v107, v107, v99
	v_add_f16_e32 v33, v33, v34
	;; [unrolled: 1-line block ×3, first 2 shown]
	v_fmamk_f16 v99, v65, 0x3aee, v112
	v_fmac_f16_e32 v112, 0xbaee, v65
	v_add_f16_e32 v65, v31, v32
	v_fmamk_f16 v66, v101, 0xbaee, v36
	v_fmac_f16_e32 v36, 0x3aee, v101
	v_add_f16_e32 v101, v102, v67
	v_fmac_f16_e32 v102, -0.5, v34
	v_sub_f16_e32 v34, v31, v32
	v_add_f16_e64 v31, v188, v31
	v_fmac_f16_e64 v188, -0.5, v65
	v_sub_f16_e32 v65, v67, v100
	v_lshrrev_b32_e32 v191, 16, v64
	v_fmamk_f16 v67, v34, 0xbaee, v102
	v_add_f16_e32 v31, v31, v32
	v_add_f16_e32 v32, v103, v105
	v_fmac_f16_e32 v102, 0x3aee, v34
	v_fma_f16 v34, 0x3aee, v65, v188
	v_fmac_f16_e64 v188, 0xbaee, v65
	v_add_f16_e32 v65, v29, v30
	v_add_f16_e64 v62, v62, v195
	v_add_f16_e32 v101, v101, v100
	v_add_f16_e32 v100, v64, v103
	v_fmac_f16_e32 v64, -0.5, v32
	v_sub_f16_e32 v32, v29, v30
	v_add_f16_e64 v29, v191, v29
	v_fmac_f16_e64 v191, -0.5, v65
	v_sub_f16_e32 v65, v103, v105
	v_pack_b32_f16 v27, v27, v68
	v_fmamk_f16 v103, v32, 0xbaee, v64
	v_fmac_f16_e32 v64, 0x3aee, v32
	v_pack_b32_f16 v32, v62, v37
	v_pack_b32_f16 v37, v108, v104
	v_pack_b32_f16 v35, v110, v35
	v_pack_b32_f16 v38, v106, v38
	v_add_f16_e32 v100, v100, v105
	v_add_f16_e32 v29, v29, v30
	v_fma_f16 v30, 0x3aee, v65, v191
	v_pack_b32_f16 v28, v28, v109
	v_fmac_f16_e64 v191, 0xbaee, v65
	v_pack_b32_f16 v33, v107, v33
	v_pack_b32_f16 v62, v66, v99
	ds_store_2addr_b32 v117, v32, v37 offset1:6
	ds_store_b32 v117, v27 offset:48
	ds_store_2addr_b32 v116, v35, v38 offset1:6
	ds_store_b32 v116, v28 offset:48
	ds_store_2addr_b32 v115, v33, v62 offset1:6
	v_pack_b32_f16 v27, v36, v112
	v_pack_b32_f16 v28, v101, v31
	;; [unrolled: 1-line block ×7, first 2 shown]
	ds_store_b32 v115, v27 offset:48
	ds_store_2addr_b32 v114, v28, v31 offset1:6
	ds_store_b32 v114, v32 offset:48
	ds_store_2addr_b32 v113, v29, v30 offset1:6
	ds_store_b32 v113, v33 offset:48
	global_wb scope:SCOPE_SE
	s_wait_dscnt 0x0
	s_barrier_signal -1
	s_barrier_wait -1
	global_inv scope:SCOPE_SE
	ds_load_2addr_b32 v[29:30], v69 offset1:126
	ds_load_2addr_b32 v[27:28], v55 offset0:120 offset1:246
	ds_load_2addr_b32 v[31:32], v57 offset0:108 offset1:234
	ds_load_2addr_b32 v[33:34], v58 offset0:116 offset1:242
	ds_load_2addr_b32 v[35:36], v59 offset0:124 offset1:250
	ds_load_2addr_b32 v[37:38], v60 offset0:104 offset1:230
	ds_load_2addr_b32 v[57:58], v61 offset0:112 offset1:238
	ds_load_b32 v59, v69 offset:7056
	global_wb scope:SCOPE_SE
	s_wait_dscnt 0x0
	s_barrier_signal -1
	s_barrier_wait -1
	global_inv scope:SCOPE_SE
	v_lshrrev_b32_e32 v60, 16, v29
	v_lshrrev_b32_e32 v61, 16, v28
	v_lshrrev_b32_e32 v62, 16, v31
	v_lshrrev_b32_e32 v65, 16, v33
	v_mul_f16_e64 v105, v142, v28
	v_lshrrev_b32_e32 v66, 16, v32
	v_mul_f16_e64 v103, v142, v61
	v_mul_f16_e64 v107, v141, v62
	v_lshrrev_b32_e32 v68, 16, v34
	v_lshrrev_b32_e32 v99, 16, v37
	;; [unrolled: 1-line block ×3, first 2 shown]
	v_fmac_f16_e32 v103, v47, v28
	v_mul_f16_e64 v28, v141, v31
	v_fma_f16 v47, v47, v61, -v105
	v_mul_f16_e64 v61, v140, v65
	v_fmac_f16_e32 v107, v48, v31
	v_mul_f16_e64 v31, v140, v33
	v_fma_f16 v28, v48, v62, -v28
	v_mul_f16_e64 v48, v139, v66
	;; [unrolled: 4-line block ×4, first 2 shown]
	v_lshrrev_b32_e32 v102, 16, v38
	v_fmac_f16_e32 v45, v43, v34
	v_mul_f16_e64 v34, v137, v37
	v_lshrrev_b32_e32 v104, 16, v58
	v_fma_f16 v32, v43, v68, -v32
	v_mul_f16_e64 v43, v136, v101
	v_fmac_f16_e32 v46, v44, v37
	v_mul_f16_e64 v37, v136, v57
	v_fma_f16 v34, v44, v99, -v34
	v_mul_f16_e64 v44, v135, v102
	v_lshrrev_b32_e32 v106, 16, v59
	v_fmac_f16_e32 v43, v41, v57
	v_mul_f16_e64 v57, v135, v38
	v_fma_f16 v37, v41, v101, -v37
	v_mul_f16_e64 v41, v134, v104
	v_fmac_f16_e32 v44, v42, v38
	v_mul_f16_e64 v38, v134, v58
	v_fma_f16 v42, v42, v102, -v57
	v_mul_f16_e64 v57, v133, v106
	v_fmac_f16_e32 v41, v39, v58
	v_mul_f16_e64 v58, v133, v59
	v_fma_f16 v38, v39, v104, -v38
	v_add_f16_e32 v39, v103, v107
	v_fmac_f16_e32 v57, v40, v59
	v_add_f16_e32 v59, v29, v103
	v_fma_f16 v40, v40, v106, -v58
	v_add_f16_e32 v58, v47, v28
	v_fma_f16 v29, -0.5, v39, v29
	v_sub_f16_e32 v39, v47, v28
	v_add_f16_e32 v47, v60, v47
	v_lshrrev_b32_e32 v64, 16, v30
	v_fmac_f16_e32 v60, -0.5, v58
	v_sub_f16_e32 v58, v103, v107
	v_fmamk_f16 v62, v39, 0xbaee, v29
	v_fmac_f16_e32 v29, 0x3aee, v39
	v_add_f16_e32 v39, v61, v48
	v_add_f16_e32 v28, v47, v28
	v_fmamk_f16 v47, v58, 0x3aee, v60
	v_add_f16_e32 v65, v30, v61
	v_fmac_f16_e32 v60, 0xbaee, v58
	v_add_f16_e32 v58, v31, v33
	v_fmac_f16_e32 v30, -0.5, v39
	v_sub_f16_e32 v39, v31, v33
	v_add_f16_e32 v31, v64, v31
	v_add_f16_e32 v65, v65, v48
	v_fmac_f16_e32 v64, -0.5, v58
	v_sub_f16_e32 v48, v61, v48
	v_lshrrev_b32_e32 v67, 16, v35
	v_add_f16_e32 v31, v31, v33
	v_add_f16_e32 v33, v45, v46
	v_fmamk_f16 v58, v39, 0xbaee, v30
	v_fmac_f16_e32 v30, 0x3aee, v39
	v_fmamk_f16 v39, v48, 0x3aee, v64
	v_fmac_f16_e32 v64, 0xbaee, v48
	v_add_f16_e32 v48, v32, v34
	v_add_f16_e32 v61, v35, v45
	v_fma_f16 v33, -0.5, v33, v35
	v_sub_f16_e32 v35, v32, v34
	v_add_f16_e32 v32, v67, v32
	v_fmac_f16_e32 v67, -0.5, v48
	v_sub_f16_e32 v45, v45, v46
	v_lshrrev_b32_e32 v100, 16, v36
	v_add_f16_e32 v61, v61, v46
	v_add_f16_e32 v32, v32, v34
	;; [unrolled: 1-line block ×3, first 2 shown]
	v_fmamk_f16 v46, v35, 0xbaee, v33
	v_fmac_f16_e32 v33, 0x3aee, v35
	v_fmamk_f16 v35, v45, 0x3aee, v67
	v_fmac_f16_e32 v67, 0xbaee, v45
	v_add_f16_e32 v45, v37, v42
	v_add_f16_e32 v48, v36, v43
	v_fmac_f16_e32 v36, -0.5, v34
	v_sub_f16_e32 v34, v37, v42
	v_add_f16_e32 v37, v100, v37
	v_fmac_f16_e32 v100, -0.5, v45
	v_sub_f16_e32 v43, v43, v44
	v_lshrrev_b32_e32 v55, 16, v27
	v_add_f16_e32 v48, v48, v44
	v_fmamk_f16 v44, v34, 0xbaee, v36
	v_fmac_f16_e32 v36, 0x3aee, v34
	v_add_f16_e32 v34, v37, v42
	v_add_f16_e32 v37, v41, v57
	v_fmamk_f16 v42, v43, 0x3aee, v100
	v_fmac_f16_e32 v100, 0xbaee, v43
	v_add_f16_e32 v43, v38, v40
	v_add_f16_e32 v59, v59, v107
	;; [unrolled: 1-line block ×3, first 2 shown]
	v_fmac_f16_e32 v27, -0.5, v37
	v_sub_f16_e32 v37, v38, v40
	v_add_f16_e32 v38, v55, v38
	v_fmac_f16_e32 v55, -0.5, v43
	v_sub_f16_e32 v41, v41, v57
	v_add_f16_e32 v43, v45, v57
	v_fmamk_f16 v45, v37, 0xbaee, v27
	v_fmac_f16_e32 v27, 0x3aee, v37
	v_add_f16_e32 v37, v38, v40
	v_pack_b32_f16 v28, v59, v28
	v_pack_b32_f16 v40, v62, v47
	;; [unrolled: 1-line block ×5, first 2 shown]
	v_fmamk_f16 v38, v41, 0x3aee, v55
	v_pack_b32_f16 v30, v30, v64
	v_fmac_f16_e32 v55, 0xbaee, v41
	v_pack_b32_f16 v32, v61, v32
	v_pack_b32_f16 v35, v46, v35
	ds_store_2addr_b32 v128, v28, v40 offset1:18
	ds_store_b32 v128, v29 offset:144
	ds_store_2addr_b32 v127, v31, v39 offset1:18
	ds_store_b32 v127, v30 offset:144
	ds_store_2addr_b32 v125, v32, v35 offset1:18
	v_pack_b32_f16 v28, v33, v67
	v_pack_b32_f16 v29, v48, v34
	;; [unrolled: 1-line block ×7, first 2 shown]
	ds_store_b32 v125, v28 offset:144
	ds_store_2addr_b32 v124, v29, v30 offset1:18
	ds_store_b32 v124, v31 offset:144
	ds_store_2addr_b32 v123, v32, v33 offset1:18
	ds_store_b32 v123, v34 offset:144
	v_add_nc_u32_e32 v30, 0x400, v69
	global_wb scope:SCOPE_SE
	s_wait_dscnt 0x0
	s_barrier_signal -1
	s_barrier_wait -1
	global_inv scope:SCOPE_SE
	ds_load_2addr_b32 v[28:29], v69 offset1:126
	ds_load_2addr_b32 v[40:41], v30 offset0:14 offset1:140
	v_add_nc_u32_e32 v30, 0x800, v69
	v_add_nc_u32_e32 v31, 0xc00, v69
	;; [unrolled: 1-line block ×5, first 2 shown]
	ds_load_2addr_b32 v[38:39], v30 offset0:28 offset1:154
	ds_load_2addr_b32 v[36:37], v31 offset0:42 offset1:168
	;; [unrolled: 1-line block ×5, first 2 shown]
	s_and_saveexec_b32 s1, s0
	s_cbranch_execz .LBB0_19
; %bb.18:
	ds_load_b32 v27, v69 offset:1008
	ds_load_b32 v56, v69 offset:2088
	;; [unrolled: 1-line block ×7, first 2 shown]
	s_wait_dscnt 0x6
	v_lshrrev_b32_e32 v55, 16, v27
	s_wait_dscnt 0x5
	v_lshrrev_b32_e32 v63, 16, v56
	;; [unrolled: 2-line block ×7, first 2 shown]
.LBB0_19:
	s_wait_alu 0xfffe
	s_or_b32 exec_lo, exec_lo, s1
	s_wait_dscnt 0x5
	v_lshrrev_b32_e32 v43, 16, v40
	s_wait_dscnt 0x4
	v_lshrrev_b32_e32 v44, 16, v38
	;; [unrolled: 2-line block ×4, first 2 shown]
	v_mul_f16_e64 v65, v164, v40
	v_mul_f16_e64 v64, v164, v43
	;; [unrolled: 1-line block ×4, first 2 shown]
	s_wait_dscnt 0x1
	v_lshrrev_b32_e32 v47, 16, v32
	s_wait_dscnt 0x0
	v_lshrrev_b32_e32 v48, 16, v30
	v_lshrrev_b32_e32 v58, 16, v41
	v_fmac_f16_e32 v64, v8, v40
	v_fma_f16 v8, v8, v43, -v65
	v_fmac_f16_e32 v66, v9, v38
	v_fma_f16 v9, v9, v44, -v67
	v_mul_f16_e64 v38, v161, v45
	v_mul_f16_e64 v40, v161, v36
	;; [unrolled: 1-line block ×4, first 2 shown]
	v_lshrrev_b32_e32 v59, 16, v39
	v_lshrrev_b32_e32 v60, 16, v37
	;; [unrolled: 1-line block ×3, first 2 shown]
	v_mul_f16_e64 v65, v159, v47
	v_fmac_f16_e32 v38, v10, v36
	v_fma_f16 v10, v10, v45, -v40
	v_fmac_f16_e32 v43, v11, v34
	v_fma_f16 v11, v11, v46, -v44
	v_mul_f16_e64 v34, v158, v48
	v_mul_f16_e64 v36, v158, v30
	;; [unrolled: 1-line block ×4, first 2 shown]
	v_lshrrev_b32_e32 v62, 16, v33
	v_lshrrev_b32_e32 v68, 16, v31
	v_fmac_f16_e32 v65, v53, v32
	v_mul_f16_e64 v32, v159, v32
	v_fmac_f16_e32 v34, v54, v30
	v_fma_f16 v30, v54, v48, -v36
	v_fmac_f16_e32 v40, v4, v41
	v_fma_f16 v4, v4, v58, -v44
	v_mul_f16_e64 v36, v156, v59
	v_mul_f16_e64 v41, v156, v39
	;; [unrolled: 1-line block ×5, first 2 shown]
	v_fma_f16 v32, v53, v47, -v32
	v_fmac_f16_e32 v36, v5, v39
	v_fma_f16 v5, v5, v59, -v41
	v_fmac_f16_e32 v44, v6, v37
	;; [unrolled: 2-line block ×3, first 2 shown]
	v_mul_f16_e64 v35, v154, v35
	v_mul_f16_e64 v37, v153, v62
	;; [unrolled: 1-line block ×5, first 2 shown]
	v_fma_f16 v7, v7, v61, -v35
	v_fmac_f16_e32 v37, v51, v33
	v_fma_f16 v33, v51, v62, -v39
	v_fmac_f16_e32 v41, v52, v31
	v_fma_f16 v31, v52, v68, -v45
	v_add_f16_e32 v35, v64, v34
	v_add_f16_e32 v39, v8, v30
	v_sub_f16_e32 v8, v8, v30
	v_add_f16_e32 v30, v66, v65
	v_add_f16_e32 v45, v9, v32
	v_sub_f16_e32 v34, v64, v34
	v_sub_f16_e32 v47, v66, v65
	v_sub_f16_e32 v9, v9, v32
	v_add_f16_e32 v32, v38, v43
	v_add_f16_e32 v48, v10, v11
	v_sub_f16_e32 v38, v43, v38
	v_sub_f16_e32 v10, v11, v10
	v_add_f16_e32 v11, v30, v35
	v_add_f16_e32 v43, v45, v39
	v_lshrrev_b32_e32 v42, 16, v28
	v_sub_f16_e32 v51, v30, v35
	v_sub_f16_e32 v52, v45, v39
	;; [unrolled: 1-line block ×6, first 2 shown]
	v_add_f16_e32 v53, v38, v47
	v_add_f16_e32 v54, v10, v9
	v_sub_f16_e32 v58, v38, v47
	v_sub_f16_e32 v59, v10, v9
	;; [unrolled: 1-line block ×3, first 2 shown]
	v_add_f16_e32 v11, v32, v11
	v_add_f16_e32 v32, v48, v43
	v_sub_f16_e32 v9, v9, v8
	v_sub_f16_e32 v38, v34, v38
	;; [unrolled: 1-line block ×3, first 2 shown]
	v_add_f16_e32 v34, v53, v34
	v_add_f16_e32 v8, v54, v8
	;; [unrolled: 1-line block ×4, first 2 shown]
	v_mul_f16_e32 v35, 0x3a52, v35
	v_mul_f16_e32 v39, 0x3a52, v39
	;; [unrolled: 1-line block ×8, first 2 shown]
	v_fmamk_f16 v11, v11, 0xbcab, v28
	v_fmamk_f16 v32, v32, 0xbcab, v42
	;; [unrolled: 1-line block ×4, first 2 shown]
	v_fma_f16 v43, v51, 0x39e0, -v43
	v_fma_f16 v48, v52, 0x39e0, -v48
	;; [unrolled: 1-line block ×4, first 2 shown]
	v_fmamk_f16 v51, v38, 0xb574, v53
	v_fmamk_f16 v52, v10, 0xb574, v54
	v_fma_f16 v38, v38, 0x3574, -v58
	v_fma_f16 v10, v10, 0x3574, -v59
	;; [unrolled: 1-line block ×3, first 2 shown]
	v_add_f16_e32 v30, v30, v11
	v_add_f16_e32 v45, v45, v32
	;; [unrolled: 1-line block ×6, first 2 shown]
	v_fmac_f16_e32 v51, 0xb70e, v34
	v_fmac_f16_e32 v10, 0xb70e, v8
	;; [unrolled: 1-line block ×3, first 2 shown]
	v_fma_f16 v9, v9, 0xbb00, -v54
	v_fmac_f16_e32 v47, 0xb70e, v34
	v_sub_f16_e32 v34, v45, v51
	v_add_f16_e32 v35, v10, v11
	v_sub_f16_e32 v39, v32, v38
	v_sub_f16_e32 v10, v11, v10
	v_add_f16_e32 v11, v38, v32
	v_add_f16_e32 v32, v51, v45
	;; [unrolled: 1-line block ×4, first 2 shown]
	v_sub_f16_e32 v40, v40, v41
	v_sub_f16_e32 v4, v4, v31
	v_add_f16_e32 v31, v36, v37
	v_add_f16_e32 v41, v5, v33
	v_fmac_f16_e32 v52, 0xb70e, v8
	v_fmac_f16_e32 v9, 0xb70e, v8
	v_sub_f16_e32 v36, v36, v37
	v_sub_f16_e32 v5, v5, v33
	v_add_f16_e32 v33, v44, v46
	v_add_f16_e32 v37, v6, v7
	v_sub_f16_e32 v44, v46, v44
	v_sub_f16_e32 v6, v7, v6
	v_add_f16_e32 v7, v31, v38
	v_add_f16_e32 v46, v41, v45
	v_lshrrev_b32_e32 v57, 16, v29
	v_add_f16_e32 v8, v52, v30
	v_sub_f16_e32 v53, v43, v9
	v_add_f16_e32 v54, v47, v48
	v_add_f16_e32 v9, v9, v43
	v_sub_f16_e32 v43, v48, v47
	v_sub_f16_e32 v30, v30, v52
	;; [unrolled: 1-line block ×8, first 2 shown]
	v_add_f16_e32 v51, v44, v36
	v_add_f16_e32 v52, v6, v5
	v_sub_f16_e32 v58, v44, v36
	v_sub_f16_e32 v59, v6, v5
	v_add_f16_e32 v7, v33, v7
	v_add_f16_e32 v33, v37, v46
	v_sub_f16_e32 v36, v36, v40
	v_sub_f16_e32 v5, v5, v4
	;; [unrolled: 1-line block ×4, first 2 shown]
	v_add_f16_e32 v37, v51, v40
	v_add_f16_e32 v4, v52, v4
	;; [unrolled: 1-line block ×4, first 2 shown]
	v_mul_f16_e32 v38, 0x3a52, v38
	v_mul_f16_e32 v45, 0x3a52, v45
	;; [unrolled: 1-line block ×8, first 2 shown]
	v_fmamk_f16 v7, v7, 0xbcab, v29
	v_fmamk_f16 v33, v33, 0xbcab, v40
	;; [unrolled: 1-line block ×4, first 2 shown]
	v_fma_f16 v46, v47, 0x39e0, -v46
	v_fma_f16 v51, v48, 0x39e0, -v51
	;; [unrolled: 1-line block ×4, first 2 shown]
	v_fmamk_f16 v47, v44, 0xb574, v52
	v_fmamk_f16 v48, v6, 0xb574, v57
	v_fma_f16 v36, v36, 0xbb00, -v52
	v_fma_f16 v5, v5, 0xbb00, -v57
	;; [unrolled: 1-line block ×4, first 2 shown]
	v_add_f16_e32 v31, v31, v7
	v_add_f16_e32 v41, v41, v33
	v_fmac_f16_e32 v47, 0xb70e, v37
	v_fmac_f16_e32 v48, 0xb70e, v4
	v_add_f16_e32 v46, v46, v7
	v_add_f16_e32 v51, v51, v33
	;; [unrolled: 1-line block ×4, first 2 shown]
	v_fmac_f16_e32 v36, 0xb70e, v37
	v_fmac_f16_e32 v6, 0xb70e, v4
	;; [unrolled: 1-line block ×4, first 2 shown]
	v_pack_b32_f16 v28, v28, v42
	v_pack_b32_f16 v8, v8, v34
	v_add_f16_e32 v4, v48, v31
	v_sub_f16_e32 v37, v41, v47
	v_pack_b32_f16 v34, v35, v39
	v_pack_b32_f16 v35, v53, v54
	v_add_f16_e32 v38, v6, v7
	v_sub_f16_e32 v45, v33, v44
	v_sub_f16_e32 v52, v46, v5
	v_add_f16_e32 v57, v36, v51
	v_pack_b32_f16 v9, v9, v43
	v_pack_b32_f16 v10, v10, v11
	v_add_nc_u32_e32 v11, 0x200, v144
	v_add_f16_e32 v5, v5, v46
	v_sub_f16_e32 v36, v51, v36
	v_sub_f16_e32 v6, v7, v6
	v_add_f16_e32 v7, v44, v33
	v_sub_f16_e32 v31, v31, v48
	v_add_f16_e32 v33, v47, v41
	global_wb scope:SCOPE_SE
	s_barrier_signal -1
	s_barrier_wait -1
	global_inv scope:SCOPE_SE
	ds_store_2addr_b32 v144, v28, v8 offset1:54
	ds_store_2addr_b32 v144, v34, v35 offset0:108 offset1:162
	ds_store_2addr_b32 v11, v9, v10 offset0:88 offset1:142
	v_pack_b32_f16 v8, v30, v32
	v_pack_b32_f16 v9, v29, v40
	v_pack_b32_f16 v4, v4, v37
	v_pack_b32_f16 v10, v38, v45
	v_pack_b32_f16 v11, v52, v57
	v_pack_b32_f16 v5, v5, v36
	v_pack_b32_f16 v6, v6, v7
	v_add_nc_u32_e32 v7, 0x200, v143
	v_pack_b32_f16 v28, v31, v33
	ds_store_b32 v144, v8 offset:1296
	ds_store_2addr_b32 v143, v9, v4 offset1:54
	ds_store_2addr_b32 v143, v10, v11 offset0:108 offset1:162
	ds_store_2addr_b32 v7, v5, v6 offset0:88 offset1:142
	ds_store_b32 v143, v28 offset:1296
	s_and_saveexec_b32 s1, s0
	s_cbranch_execz .LBB0_21
; %bb.20:
	v_mul_f16_e64 v4, v149, v63
	v_mul_f16_e64 v7, v147, v168
	v_mul_f16_e64 v28, v150, v172
	v_mul_f16_e64 v31, v149, v56
	v_mul_f16_e64 v33, v148, v170
	v_mul_f16_e64 v34, v147, v163
	v_mul_f16_e64 v5, v146, v169
	v_mul_f16_e64 v6, v145, v167
	v_mul_f16_e64 v8, v148, v171
	v_mul_f16_e64 v9, v150, v173
	v_fmac_f16_e64 v7, v1, v163
	v_fmac_f16_e32 v4, v0, v56
	v_fma_f16 v28, v50, v173, -v28
	v_fma_f16 v0, v0, v63, -v31
	v_mul_f16_e64 v31, v145, v165
	v_mul_f16_e64 v35, v146, v166
	v_fma_f16 v33, v49, v171, -v33
	v_fma_f16 v1, v1, v168, -v34
	v_fmac_f16_e64 v5, v3, v166
	v_fmac_f16_e64 v6, v2, v165
	;; [unrolled: 1-line block ×4, first 2 shown]
	v_add_f16_e32 v34, v28, v0
	v_fma_f16 v2, v2, v167, -v31
	v_fma_f16 v3, v3, v169, -v35
	v_add_f16_e32 v31, v33, v1
	v_sub_f16_e32 v11, v7, v8
	v_sub_f16_e32 v29, v4, v9
	v_add_f16_e32 v4, v9, v4
	v_add_f16_e32 v36, v2, v3
	;; [unrolled: 1-line block ×4, first 2 shown]
	v_sub_f16_e32 v10, v5, v6
	v_add_f16_e32 v5, v6, v5
	v_sub_f16_e32 v38, v34, v36
	v_add_f16_e32 v37, v36, v37
	;; [unrolled: 2-line block ×3, first 2 shown]
	v_sub_f16_e32 v39, v4, v5
	v_sub_f16_e32 v2, v3, v2
	;; [unrolled: 1-line block ×4, first 2 shown]
	v_add_f16_e32 v36, v5, v36
	v_sub_f16_e32 v30, v10, v11
	v_sub_f16_e32 v32, v29, v10
	v_add_f16_e32 v10, v10, v11
	v_mul_f16_e32 v3, 0x3a52, v39
	v_sub_f16_e32 v5, v5, v7
	v_add_f16_e32 v27, v27, v36
	v_sub_f16_e32 v28, v2, v1
	v_sub_f16_e32 v11, v11, v29
	v_mul_f16_e32 v9, 0x3a52, v38
	v_sub_f16_e32 v39, v0, v2
	v_add_f16_e32 v2, v2, v1
	v_sub_f16_e32 v31, v31, v34
	v_sub_f16_e32 v1, v1, v0
	v_mul_f16_e32 v30, 0x3846, v30
	v_add_f16_e32 v6, v55, v37
	v_mul_f16_e32 v38, 0x2b26, v8
	v_fmamk_f16 v33, v5, 0x2b26, v3
	v_fmamk_f16 v36, v36, 0xbcab, v27
	v_mul_f16_e32 v28, 0x3846, v28
	v_mul_f16_e32 v41, 0xbb00, v11
	v_fmamk_f16 v8, v8, 0x2b26, v9
	v_mul_f16_e32 v5, 0x2b26, v5
	v_sub_f16_e32 v4, v7, v4
	v_fma_f16 v7, v31, 0xb9e0, -v9
	v_mul_f16_e32 v9, 0xbb00, v1
	v_fmamk_f16 v35, v32, 0xb574, v30
	v_add_f16_e32 v10, v10, v29
	v_fmamk_f16 v37, v37, 0xbcab, v6
	v_add_f16_e32 v29, v33, v36
	;; [unrolled: 2-line block ×3, first 2 shown]
	v_fma_f16 v2, v32, 0x3574, -v41
	v_fma_f16 v31, v31, 0x39e0, -v38
	;; [unrolled: 1-line block ×7, first 2 shown]
	v_fmac_f16_e32 v35, 0xb70e, v10
	v_add_f16_e32 v8, v8, v37
	v_fmac_f16_e32 v33, 0xb70e, v0
	v_fmac_f16_e32 v2, 0xb70e, v10
	v_add_f16_e32 v7, v7, v37
	v_add_f16_e32 v5, v31, v37
	v_fmac_f16_e32 v11, 0xb70e, v10
	v_add_f16_e32 v3, v3, v36
	v_fmac_f16_e32 v9, 0xb70e, v0
	v_fmac_f16_e32 v1, 0xb70e, v0
	v_add_f16_e32 v0, v4, v36
	v_add_f16_e32 v40, v35, v8
	v_add_f16_e32 v10, v2, v7
	v_sub_f16_e32 v30, v5, v11
	v_add_f16_e32 v5, v11, v5
	v_sub_f16_e32 v2, v7, v2
	v_sub_f16_e32 v7, v8, v35
	v_add_f16_e32 v8, v33, v29
	v_lshlrev_b32_e32 v11, 2, v151
	v_sub_f16_e32 v28, v3, v9
	v_add_f16_e32 v31, v1, v0
	v_add_f16_e32 v3, v9, v3
	v_sub_f16_e32 v0, v0, v1
	v_sub_f16_e32 v4, v29, v33
	v_pack_b32_f16 v1, v27, v6
	v_pack_b32_f16 v6, v8, v7
	v_add_nc_u32_e32 v7, 0x1600, v11
	v_pack_b32_f16 v2, v3, v2
	v_pack_b32_f16 v0, v0, v5
	v_add_nc_u32_e32 v3, 0x1800, v11
	v_pack_b32_f16 v5, v31, v30
	v_pack_b32_f16 v8, v28, v10
	v_pack_b32_f16 v4, v4, v40
	ds_store_2addr_b32 v7, v1, v6 offset0:104 offset1:158
	ds_store_2addr_b32 v3, v2, v0 offset0:84 offset1:138
	;; [unrolled: 1-line block ×3, first 2 shown]
	ds_store_b32 v11, v4 offset:7344
.LBB0_21:
	s_wait_alu 0xfffe
	s_or_b32 exec_lo, exec_lo, s1
	v_add_nc_u32_e32 v3, 0x200, v69
	v_add_nc_u32_e32 v6, 0xa00, v69
	;; [unrolled: 1-line block ×3, first 2 shown]
	global_wb scope:SCOPE_SE
	s_wait_dscnt 0x0
	s_barrier_signal -1
	s_barrier_wait -1
	global_inv scope:SCOPE_SE
	ds_load_2addr_b32 v[4:5], v3 offset0:124 offset1:250
	v_add_nc_u32_e32 v10, 0x1600, v69
	ds_load_2addr_b32 v[6:7], v6 offset0:116 offset1:242
	v_add_nc_u32_e32 v2, 0x600, v69
	v_add_nc_u32_e32 v29, 0x1200, v69
	ds_load_2addr_b32 v[0:1], v69 offset1:126
	ds_load_2addr_b32 v[8:9], v8 offset0:112 offset1:238
	ds_load_2addr_b32 v[10:11], v10 offset0:104 offset1:230
	;; [unrolled: 1-line block ×4, first 2 shown]
	ds_load_b32 v31, v69 offset:7056
	s_mov_b32 s10, 0xbc011567
	s_mov_b32 s11, 0x3f41566a
	s_wait_dscnt 0x7
	v_lshrrev_b32_e32 v34, 16, v5
	v_mul_f16_e64 v48, v183, v5
	s_wait_dscnt 0x6
	v_lshrrev_b32_e32 v35, 16, v6
	s_wait_dscnt 0x4
	v_lshrrev_b32_e32 v36, 16, v9
	s_wait_dscnt 0x3
	v_lshrrev_b32_e32 v37, 16, v10
	s_wait_dscnt 0x2
	v_lshrrev_b32_e32 v38, 16, v27
	v_mul_f16_e64 v47, v183, v34
	v_mul_f16_e64 v49, v184, v35
	;; [unrolled: 1-line block ×4, first 2 shown]
	v_lshrrev_b32_e32 v39, 16, v7
	s_wait_dscnt 0x1
	v_lshrrev_b32_e32 v40, 16, v29
	v_fmac_f16_e32 v47, v20, v5
	v_fma_f16 v5, v20, v34, -v48
	v_fmac_f16_e32 v49, v21, v6
	v_fma_f16 v6, v21, v35, -v50
	v_fmac_f16_e32 v51, v22, v9
	v_mul_f16_e64 v9, v181, v9
	v_mul_f16_e64 v20, v185, v37
	;; [unrolled: 1-line block ×4, first 2 shown]
	v_lshrrev_b32_e32 v41, 16, v11
	v_lshrrev_b32_e32 v44, 16, v8
	v_mul_f16_e64 v35, v178, v27
	v_fma_f16 v9, v22, v36, -v9
	v_fmac_f16_e32 v20, v23, v10
	v_fma_f16 v10, v23, v37, -v21
	v_fmac_f16_e32 v34, v16, v27
	v_mul_f16_e64 v21, v179, v39
	v_mul_f16_e64 v22, v179, v7
	;; [unrolled: 1-line block ×4, first 2 shown]
	v_lshrrev_b32_e32 v43, 16, v28
	v_fma_f16 v16, v16, v38, -v35
	v_mul_f16_e64 v35, v182, v41
	v_fmac_f16_e32 v21, v17, v7
	v_fma_f16 v7, v17, v39, -v22
	v_fmac_f16_e32 v23, v18, v29
	v_fma_f16 v17, v18, v40, -v27
	v_mul_f16_e64 v27, v176, v44
	v_mul_f16_e64 v29, v176, v8
	v_lshrrev_b32_e32 v45, 16, v30
	v_fmac_f16_e32 v35, v19, v11
	v_mul_f16_e64 v11, v182, v11
	v_mul_f16_e64 v18, v177, v43
	;; [unrolled: 1-line block ×3, first 2 shown]
	v_fmac_f16_e32 v27, v13, v8
	v_fma_f16 v8, v13, v44, -v29
	v_add_f16_e32 v13, v49, v51
	s_wait_dscnt 0x0
	v_lshrrev_b32_e32 v46, 16, v31
	v_fma_f16 v11, v19, v41, -v11
	v_fmac_f16_e32 v18, v12, v28
	v_fma_f16 v12, v12, v43, -v22
	v_mul_f16_e64 v19, v175, v45
	v_mul_f16_e64 v22, v175, v30
	v_add_f16_e32 v29, v0, v47
	v_fma_f16 v13, -0.5, v13, v0
	v_sub_f16_e32 v36, v5, v10
	v_lshrrev_b32_e32 v32, 16, v0
	v_mul_f16_e64 v28, v174, v46
	v_fmac_f16_e32 v19, v14, v30
	v_fma_f16 v14, v14, v45, -v22
	v_add_f16_e32 v22, v29, v49
	v_fmamk_f16 v29, v36, 0xbb9c, v13
	v_sub_f16_e32 v30, v6, v9
	v_sub_f16_e32 v37, v47, v49
	;; [unrolled: 1-line block ×3, first 2 shown]
	v_add_f16_e32 v39, v47, v20
	v_fmac_f16_e32 v13, 0x3b9c, v36
	v_fmac_f16_e32 v28, v15, v31
	v_mul_f16_e64 v31, v174, v31
	v_add_f16_e32 v22, v22, v51
	v_fmac_f16_e32 v29, 0xb8b4, v30
	v_add_f16_e32 v37, v37, v38
	v_fma_f16 v0, -0.5, v39, v0
	v_sub_f16_e32 v38, v49, v47
	v_sub_f16_e32 v39, v51, v20
	v_fmac_f16_e32 v13, 0x38b4, v30
	v_add_f16_e32 v40, v32, v5
	v_add_f16_e32 v41, v6, v9
	v_fma_f16 v15, v15, v46, -v31
	v_add_f16_e32 v22, v22, v20
	v_fmac_f16_e32 v29, 0x34f2, v37
	v_fmamk_f16 v31, v30, 0x3b9c, v0
	v_add_f16_e32 v38, v38, v39
	v_fmac_f16_e32 v0, 0xbb9c, v30
	v_add_f16_e32 v30, v40, v6
	v_fma_f16 v39, -0.5, v41, v32
	v_sub_f16_e32 v20, v47, v20
	v_fmac_f16_e32 v13, 0x34f2, v37
	v_add_f16_e32 v37, v5, v10
	v_sub_f16_e32 v41, v5, v6
	v_sub_f16_e32 v5, v6, v5
	v_sub_f16_e32 v6, v9, v10
	v_fmac_f16_e32 v31, 0xb8b4, v36
	v_fmac_f16_e32 v0, 0x38b4, v36
	v_add_f16_e32 v30, v30, v9
	v_fmamk_f16 v36, v20, 0x3b9c, v39
	v_sub_f16_e32 v40, v49, v51
	v_sub_f16_e32 v43, v10, v9
	v_fmac_f16_e32 v32, -0.5, v37
	v_fmac_f16_e32 v39, 0xbb9c, v20
	v_add_f16_e32 v9, v21, v23
	v_add_f16_e32 v5, v5, v6
	;; [unrolled: 1-line block ×3, first 2 shown]
	v_lshrrev_b32_e32 v33, 16, v1
	v_fmac_f16_e32 v31, 0x34f2, v38
	v_fmac_f16_e32 v0, 0x34f2, v38
	v_add_f16_e32 v30, v30, v10
	v_fmac_f16_e32 v36, 0x38b4, v40
	v_add_f16_e32 v37, v41, v43
	v_fmamk_f16 v38, v40, 0xbb9c, v32
	v_fmac_f16_e32 v39, 0xb8b4, v40
	v_fma_f16 v9, -0.5, v9, v1
	v_sub_f16_e32 v10, v16, v11
	v_fmac_f16_e32 v32, 0x3b9c, v40
	v_add_f16_e32 v6, v6, v21
	v_add_f16_e32 v44, v34, v35
	v_fmac_f16_e32 v36, 0x34f2, v37
	v_fmac_f16_e32 v38, 0x38b4, v20
	;; [unrolled: 1-line block ×3, first 2 shown]
	v_fmamk_f16 v37, v10, 0xbb9c, v9
	v_sub_f16_e32 v40, v7, v17
	v_sub_f16_e32 v41, v34, v21
	;; [unrolled: 1-line block ×3, first 2 shown]
	v_fmac_f16_e32 v32, 0xb8b4, v20
	v_add_f16_e32 v6, v6, v23
	v_fmac_f16_e32 v1, -0.5, v44
	v_fmac_f16_e32 v9, 0x3b9c, v10
	v_add_f16_e32 v44, v33, v16
	v_fmac_f16_e32 v38, 0x34f2, v5
	v_fmac_f16_e32 v37, 0xb8b4, v40
	v_add_f16_e32 v20, v41, v43
	v_fmac_f16_e32 v32, 0x34f2, v5
	v_add_f16_e32 v5, v6, v35
	v_fmamk_f16 v6, v40, 0x3b9c, v1
	v_sub_f16_e32 v41, v21, v34
	v_sub_f16_e32 v43, v23, v35
	v_fmac_f16_e32 v9, 0x38b4, v40
	v_add_f16_e32 v45, v7, v17
	v_fmac_f16_e32 v1, 0xbb9c, v40
	v_add_f16_e32 v40, v44, v7
	;; [unrolled: 2-line block ×3, first 2 shown]
	v_fma_f16 v43, -0.5, v45, v33
	v_sub_f16_e32 v34, v34, v35
	v_fmac_f16_e32 v1, 0x38b4, v10
	v_add_f16_e32 v10, v40, v17
	v_add_f16_e32 v35, v16, v11
	v_fmac_f16_e32 v37, 0x34f2, v20
	v_fmac_f16_e32 v9, 0x34f2, v20
	v_fmamk_f16 v20, v34, 0x3b9c, v43
	v_sub_f16_e32 v21, v21, v23
	v_sub_f16_e32 v23, v16, v7
	v_sub_f16_e32 v40, v11, v17
	v_fmac_f16_e32 v33, -0.5, v35
	v_add_f16_e32 v10, v10, v11
	v_fmac_f16_e32 v43, 0xbb9c, v34
	v_sub_f16_e32 v7, v7, v16
	v_sub_f16_e32 v11, v17, v11
	v_add_f16_e32 v16, v27, v19
	v_fmac_f16_e32 v20, 0x38b4, v21
	v_add_f16_e32 v23, v23, v40
	v_fmamk_f16 v35, v21, 0xbb9c, v33
	v_fmac_f16_e32 v43, 0xb8b4, v21
	v_add_f16_e32 v7, v7, v11
	v_fmac_f16_e32 v33, 0x3b9c, v21
	v_add_f16_e32 v11, v4, v18
	v_fma_f16 v16, -0.5, v16, v4
	v_sub_f16_e32 v17, v12, v15
	v_fmac_f16_e32 v6, 0x34f2, v41
	v_fmac_f16_e32 v1, 0x34f2, v41
	;; [unrolled: 1-line block ×6, first 2 shown]
	v_add_f16_e32 v11, v11, v27
	v_fmamk_f16 v21, v17, 0xbb9c, v16
	v_sub_f16_e32 v23, v8, v14
	v_sub_f16_e32 v34, v18, v27
	;; [unrolled: 1-line block ×3, first 2 shown]
	v_fmac_f16_e32 v16, 0x3b9c, v17
	v_add_f16_e32 v41, v18, v28
	v_lshrrev_b32_e32 v42, 16, v4
	v_add_f16_e32 v11, v11, v19
	v_fmac_f16_e32 v21, 0xb8b4, v23
	v_add_f16_e32 v34, v34, v40
	v_fmac_f16_e32 v16, 0x38b4, v23
	v_fmac_f16_e32 v4, -0.5, v41
	v_fmac_f16_e32 v35, 0x34f2, v7
	v_fmac_f16_e32 v33, 0x34f2, v7
	v_add_f16_e32 v7, v11, v28
	v_fmac_f16_e32 v21, 0x34f2, v34
	v_fmac_f16_e32 v16, 0x34f2, v34
	v_fmamk_f16 v11, v23, 0x3b9c, v4
	v_add_f16_e32 v34, v8, v14
	v_sub_f16_e32 v40, v27, v18
	v_sub_f16_e32 v41, v19, v28
	v_fmac_f16_e32 v4, 0xbb9c, v23
	v_add_f16_e32 v23, v42, v12
	v_fma_f16 v34, -0.5, v34, v42
	v_sub_f16_e32 v18, v18, v28
	v_fmac_f16_e32 v11, 0xb8b4, v17
	v_add_f16_e32 v28, v40, v41
	v_fmac_f16_e32 v4, 0x38b4, v17
	v_add_f16_e32 v40, v12, v15
	v_add_f16_e32 v17, v23, v8
	v_fmamk_f16 v23, v18, 0x3b9c, v34
	v_sub_f16_e32 v19, v27, v19
	v_fmac_f16_e32 v11, 0x34f2, v28
	v_fmac_f16_e32 v4, 0x34f2, v28
	v_fmac_f16_e32 v42, -0.5, v40
	v_sub_f16_e32 v27, v12, v8
	v_sub_f16_e32 v28, v15, v14
	v_fmac_f16_e32 v34, 0xbb9c, v18
	v_add_f16_e32 v17, v17, v14
	v_fmac_f16_e32 v23, 0x38b4, v19
	v_fmamk_f16 v40, v19, 0xbb9c, v42
	v_sub_f16_e32 v8, v8, v12
	v_sub_f16_e32 v12, v14, v15
	v_fmac_f16_e32 v42, 0x3b9c, v19
	v_add_f16_e32 v14, v27, v28
	v_fmac_f16_e32 v34, 0xb8b4, v19
	v_fmac_f16_e32 v40, 0x38b4, v18
	v_add_f16_e32 v8, v8, v12
	v_fmac_f16_e32 v42, 0xb8b4, v18
	v_fmac_f16_e32 v23, 0x34f2, v14
	;; [unrolled: 1-line block ×3, first 2 shown]
	v_pack_b32_f16 v14, v29, v36
	v_add_f16_e32 v12, v17, v15
	v_pack_b32_f16 v15, v31, v38
	v_pack_b32_f16 v0, v0, v32
	;; [unrolled: 1-line block ×3, first 2 shown]
	v_fmac_f16_e32 v40, 0x34f2, v8
	v_fmac_f16_e32 v42, 0x34f2, v8
	v_pack_b32_f16 v8, v22, v30
	v_pack_b32_f16 v5, v5, v10
	ds_store_b32 v69, v14 offset:1512
	ds_store_b32 v69, v15 offset:3024
	;; [unrolled: 1-line block ×4, first 2 shown]
	v_pack_b32_f16 v0, v1, v33
	v_pack_b32_f16 v1, v9, v43
	;; [unrolled: 1-line block ×3, first 2 shown]
	ds_store_2addr_b32 v69, v8, v5 offset1:126
	ds_store_b32 v69, v0 offset:5040
	ds_store_b32 v69, v1 offset:6552
	v_pack_b32_f16 v0, v7, v12
	v_pack_b32_f16 v5, v37, v20
	;; [unrolled: 1-line block ×6, first 2 shown]
	ds_store_b32 v69, v6 offset:3528
	ds_store_b32 v69, v0 offset:1008
	ds_store_2addr_b32 v2, v5, v1 offset0:120 offset1:246
	ds_store_b32 v69, v7 offset:4032
	ds_store_b32 v69, v4 offset:5544
	;; [unrolled: 1-line block ×3, first 2 shown]
	global_wb scope:SCOPE_SE
	s_wait_dscnt 0x0
	s_barrier_signal -1
	s_barrier_wait -1
	global_inv scope:SCOPE_SE
	ds_load_2addr_b32 v[4:5], v69 offset1:126
	s_wait_dscnt 0x0
	v_lshrrev_b32_e32 v6, 16, v4
	s_delay_alu instid0(VALU_DEP_1) | instskip(NEXT) | instid1(VALU_DEP_1)
	v_mul_f16_e32 v0, v98, v6
	v_fmac_f16_e32 v0, v95, v4
	v_mul_f16_e32 v4, v98, v4
	s_delay_alu instid0(VALU_DEP_2) | instskip(NEXT) | instid1(VALU_DEP_2)
	v_cvt_f32_f16_e32 v0, v0
	v_fma_f16 v4, v95, v6, -v4
	s_delay_alu instid0(VALU_DEP_2) | instskip(NEXT) | instid1(VALU_DEP_2)
	v_cvt_f64_f32_e32 v[0:1], v0
	v_cvt_f32_f16_e32 v4, v4
	s_delay_alu instid0(VALU_DEP_1) | instskip(SKIP_1) | instid1(VALU_DEP_3)
	v_cvt_f64_f32_e32 v[6:7], v4
	s_wait_alu 0xfffe
	v_mul_f64_e32 v[8:9], s[10:11], v[0:1]
	v_add_nc_u32_e32 v0, 0xb00, v69
	s_delay_alu instid0(VALU_DEP_3)
	v_mul_f64_e32 v[6:7], s[10:11], v[6:7]
	ds_load_2addr_b32 v[0:1], v0 offset0:52 offset1:241
	v_and_or_b32 v4, 0x1ff, v9, v8
	s_wait_dscnt 0x0
	v_lshrrev_b32_e32 v8, 16, v1
	v_lshrrev_b32_e32 v10, 8, v9
	v_bfe_u32 v12, v9, 20, 11
	v_cmp_ne_u32_e64 s0, 0, v4
	s_delay_alu instid0(VALU_DEP_4)
	v_mul_f16_e32 v11, v97, v8
	v_and_or_b32 v6, 0x1ff, v7, v6
	v_lshrrev_b32_e32 v16, 8, v7
	v_bfe_u32 v17, v7, 20, 11
	s_wait_alu 0xf1ff
	v_cndmask_b32_e64 v4, 0, 1, s0
	v_fmac_f16_e32 v11, v96, v1
	v_cmp_ne_u32_e64 s0, 0, v6
	v_mul_f16_e32 v1, v97, v1
	v_add_nc_u32_e32 v18, 0xfffffc10, v12
	v_and_or_b32 v4, 0xffe, v10, v4
	v_sub_nc_u32_e32 v10, 0x3f1, v12
	s_wait_alu 0xf1ff
	v_cndmask_b32_e64 v6, 0, 1, s0
	v_sub_nc_u32_e32 v12, 0x3f1, v17
	v_fma_f16 v1, v96, v8, -v1
	v_or_b32_e32 v13, 0x1000, v4
	v_med3_i32 v14, v10, 0, 13
	v_cvt_f32_f16_e32 v10, v11
	v_and_or_b32 v6, 0xffe, v16, v6
	v_cvt_f32_f16_e32 v1, v1
	v_add_nc_u32_e32 v19, 0xfffffc10, v17
	v_lshrrev_b32_e32 v15, v14, v13
	v_cvt_f64_f32_e32 v[10:11], v10
	s_delay_alu instid0(VALU_DEP_2) | instskip(NEXT) | instid1(VALU_DEP_1)
	v_lshlrev_b32_e32 v14, v14, v15
	v_cmp_ne_u32_e64 s0, v14, v13
	v_or_b32_e32 v14, 0x1000, v6
	s_wait_alu 0xf1ff
	s_delay_alu instid0(VALU_DEP_2) | instskip(SKIP_1) | instid1(VALU_DEP_2)
	v_cndmask_b32_e64 v13, 0, 1, s0
	v_cmp_gt_i32_e64 s0, 1, v18
	v_or_b32_e32 v8, v15, v13
	v_lshl_or_b32 v13, v18, 12, v4
	v_med3_i32 v15, v12, 0, 13
	s_wait_alu 0xf1ff
	s_delay_alu instid0(VALU_DEP_2) | instskip(NEXT) | instid1(VALU_DEP_2)
	v_cndmask_b32_e64 v8, v13, v8, s0
	v_lshrrev_b32_e32 v16, v15, v14
	v_cvt_f64_f32_e32 v[12:13], v1
	s_delay_alu instid0(VALU_DEP_3) | instskip(NEXT) | instid1(VALU_DEP_3)
	v_and_b32_e32 v1, 7, v8
	v_lshlrev_b32_e32 v15, v15, v16
	v_lshrrev_b32_e32 v8, 2, v8
	s_delay_alu instid0(VALU_DEP_3) | instskip(SKIP_1) | instid1(VALU_DEP_4)
	v_cmp_lt_i32_e64 s0, 5, v1
	v_cmp_eq_u32_e64 s1, 3, v1
	v_cmp_ne_u32_e64 s2, v15, v14
	v_mul_f64_e32 v[10:11], s[10:11], v[10:11]
	v_mad_co_u64_u32 v[14:15], null, s6, v26, 0
	s_delay_alu instid0(VALU_DEP_4) | instskip(NEXT) | instid1(VALU_DEP_3)
	s_or_b32 s0, s1, s0
	v_cndmask_b32_e64 v1, 0, 1, s2
	s_wait_alu 0xfffe
	v_add_co_ci_u32_e64 v8, s0, 0, v8, s0
	v_cmp_ne_u32_e64 s0, 0, v4
	s_delay_alu instid0(VALU_DEP_3) | instskip(SKIP_2) | instid1(VALU_DEP_3)
	v_or_b32_e32 v1, v16, v1
	v_lshl_or_b32 v16, v19, 12, v6
	s_wait_alu 0xf1ff
	v_cndmask_b32_e64 v4, 0, 1, s0
	v_cmp_gt_i32_e64 s0, 1, v19
	s_delay_alu instid0(VALU_DEP_2) | instskip(SKIP_1) | instid1(VALU_DEP_2)
	v_lshl_or_b32 v4, v4, 9, 0x7c00
	s_wait_alu 0xf1ff
	v_cndmask_b32_e64 v17, v16, v1, s0
	v_cmp_gt_i32_e64 s0, 31, v18
	s_delay_alu instid0(VALU_DEP_2) | instskip(SKIP_1) | instid1(VALU_DEP_2)
	v_dual_mov_b32 v1, v15 :: v_dual_and_b32 v20, 7, v17
	s_wait_alu 0xf1ff
	v_cndmask_b32_e64 v8, 0x7c00, v8, s0
	v_cmp_eq_u32_e64 s0, 0x40f, v18
	s_delay_alu instid0(VALU_DEP_3)
	v_mad_co_u64_u32 v[15:16], null, s7, v26, v[1:2]
	v_lshrrev_b32_e32 v18, 16, v5
	v_cmp_eq_u32_e64 s1, 3, v20
	s_wait_alu 0xf1ff
	v_cndmask_b32_e64 v1, v8, v4, s0
	v_lshrrev_b32_e32 v4, 16, v9
	v_cmp_lt_i32_e64 s0, 5, v20
	v_mul_f64_e32 v[8:9], s[10:11], v[12:13]
	v_lshrrev_b32_e32 v12, 2, v17
	s_delay_alu instid0(VALU_DEP_4)
	v_and_or_b32 v4, 0x8000, v4, v1
	v_mul_f16_e32 v1, v94, v18
	s_or_b32 s0, s1, s0
	v_and_or_b32 v10, 0x1ff, v11, v10
	s_wait_alu 0xfffe
	v_add_co_ci_u32_e64 v12, s0, 0, v12, s0
	v_fmac_f16_e32 v1, v92, v5
	v_cmp_ne_u32_e64 s0, 0, v6
	v_lshrrev_b32_e32 v21, 8, v11
	v_bfe_u32 v22, v11, 20, 11
	v_mul_f16_e32 v5, v94, v5
	v_cvt_f32_f16_e32 v1, v1
	s_wait_alu 0xf1ff
	v_cndmask_b32_e64 v6, 0, 1, s0
	v_cmp_gt_i32_e64 s0, 31, v19
	v_and_b32_e32 v4, 0xffff, v4
	v_fma_f16 v5, v92, v18, -v5
	v_cvt_f64_f32_e32 v[16:17], v1
	v_lshl_or_b32 v6, v6, 9, 0x7c00
	s_wait_alu 0xf1ff
	v_cndmask_b32_e64 v20, 0x7c00, v12, s0
	v_cmp_ne_u32_e64 s0, 0, v10
	v_mad_co_u64_u32 v[12:13], null, s4, v90, 0
	v_lshrrev_b32_e32 v11, 16, v11
	s_wait_alu 0xf1ff
	s_delay_alu instid0(VALU_DEP_3) | instskip(SKIP_1) | instid1(VALU_DEP_4)
	v_cndmask_b32_e64 v10, 0, 1, s0
	v_cmp_eq_u32_e64 s0, 0x40f, v19
	v_mov_b32_e32 v1, v13
	s_delay_alu instid0(VALU_DEP_3) | instskip(SKIP_1) | instid1(VALU_DEP_3)
	v_and_or_b32 v10, 0xffe, v21, v10
	s_wait_alu 0xf1ff
	v_cndmask_b32_e64 v19, v20, v6, s0
	v_sub_nc_u32_e32 v13, 0x3f1, v22
	v_lshrrev_b32_e32 v20, 16, v7
	v_mad_co_u64_u32 v[6:7], null, s5, v90, v[1:2]
	v_or_b32_e32 v1, 0x1000, v10
	s_delay_alu instid0(VALU_DEP_4) | instskip(NEXT) | instid1(VALU_DEP_4)
	v_med3_i32 v7, v13, 0, 13
	v_and_or_b32 v19, 0x8000, v20, v19
	v_and_or_b32 v8, 0x1ff, v9, v8
	v_add_nc_u32_e32 v21, 0xfffffc10, v22
	v_lshrrev_b32_e32 v27, 16, v9
	v_mov_b32_e32 v13, v6
	v_lshrrev_b32_e32 v20, v7, v1
	v_lshl_or_b32 v18, v19, 16, v4
	v_cvt_f32_f16_e32 v4, v5
	v_cmp_ne_u32_e64 s0, 0, v8
	v_lshrrev_b32_e32 v8, 8, v9
	v_lshlrev_b32_e32 v6, v7, v20
	v_bfe_u32 v19, v9, 20, 11
	v_cvt_f64_f32_e32 v[4:5], v4
	s_wait_alu 0xf1ff
	v_cndmask_b32_e64 v7, 0, 1, s0
	v_lshlrev_b64_e32 v[12:13], 2, v[12:13]
	v_cmp_ne_u32_e64 s0, v6, v1
	v_sub_nc_u32_e32 v22, 0x3f1, v19
	v_add_nc_u32_e32 v19, 0xfffffc10, v19
	v_and_or_b32 v8, 0xffe, v8, v7
	v_lshlrev_b64_e32 v[6:7], 2, v[14:15]
	s_wait_alu 0xf1ff
	v_cndmask_b32_e64 v1, 0, 1, s0
	v_mul_f64_e32 v[14:15], s[10:11], v[16:17]
	v_cmp_gt_i32_e64 s0, 1, v21
	v_or_b32_e32 v23, 0x1000, v8
	v_med3_i32 v22, v22, 0, 13
	v_or_b32_e32 v1, v20, v1
	v_lshl_or_b32 v20, v21, 12, v10
	v_add_nc_u32_e32 v16, 0x1000, v69
	s_wait_alu 0xf1ff
	s_delay_alu instid0(VALU_DEP_2)
	v_cndmask_b32_e64 v1, v20, v1, s0
	v_add_co_u32 v6, s0, s8, v6
	v_lshrrev_b32_e32 v20, v22, v23
	ds_load_2addr_b32 v[16:17], v16 offset0:47 offset1:173
	s_wait_alu 0xf1ff
	v_add_co_ci_u32_e64 v7, s0, s9, v7, s0
	v_and_b32_e32 v26, 7, v1
	v_add_co_u32 v6, s0, v6, v12
	v_lshlrev_b32_e32 v22, v22, v20
	s_wait_alu 0xf1ff
	v_add_co_ci_u32_e64 v7, s0, v7, v13, s0
	v_cmp_lt_i32_e64 s0, 5, v26
	v_cmp_eq_u32_e64 s1, 3, v26
	v_lshrrev_b32_e32 v1, 2, v1
	v_cmp_ne_u32_e64 s2, v22, v23
	v_lshl_or_b32 v13, v19, 12, v8
	global_store_b32 v[6:7], v18, off
	s_or_b32 s0, s1, s0
	v_mul_f64_e32 v[4:5], s[10:11], v[4:5]
	s_wait_alu 0xfffe
	v_add_co_ci_u32_e64 v1, s0, 0, v1, s0
	v_cndmask_b32_e64 v12, 0, 1, s2
	v_cmp_ne_u32_e64 s0, 0, v10
	s_delay_alu instid0(VALU_DEP_2)
	v_or_b32_e32 v12, v20, v12
	s_wait_dscnt 0x0
	v_lshrrev_b32_e32 v20, 16, v16
	s_wait_alu 0xf1ff
	v_cndmask_b32_e64 v10, 0, 1, s0
	v_cmp_gt_i32_e64 s0, 1, v19
	v_and_or_b32 v14, 0x1ff, v15, v14
	s_delay_alu instid0(VALU_DEP_3) | instskip(SKIP_1) | instid1(VALU_DEP_3)
	v_lshl_or_b32 v10, v10, 9, 0x7c00
	s_wait_alu 0xf1ff
	v_cndmask_b32_e64 v12, v13, v12, s0
	v_mul_f16_e32 v13, v93, v20
	v_cmp_gt_i32_e64 s0, 31, v21
	v_cmp_ne_u32_e64 s1, 0, v14
	v_lshrrev_b32_e32 v14, 8, v15
	v_and_b32_e32 v22, 7, v12
	v_fmac_f16_e32 v13, v91, v16
	s_wait_alu 0xf1ff
	v_cndmask_b32_e64 v1, 0x7c00, v1, s0
	v_cmp_eq_u32_e64 s0, 0x40f, v21
	v_bfe_u32 v21, v15, 20, 11
	v_lshrrev_b32_e32 v15, 16, v15
	v_cvt_f32_f16_e32 v13, v13
	s_wait_alu 0xf1ff
	v_cndmask_b32_e64 v1, v1, v10, s0
	v_cmp_lt_i32_e64 s0, 5, v22
	v_cndmask_b32_e64 v10, 0, 1, s1
	v_cmp_eq_u32_e64 s1, 3, v22
	v_lshrrev_b32_e32 v22, 2, v12
	v_cvt_f64_f32_e32 v[12:13], v13
	v_and_or_b32 v1, 0x8000, v11, v1
	v_and_or_b32 v14, 0xffe, v14, v10
	s_or_b32 s0, s1, s0
	v_sub_nc_u32_e32 v10, 0x3f1, v21
	s_wait_alu 0xfffe
	v_add_co_ci_u32_e64 v22, s0, 0, v22, s0
	v_cmp_ne_u32_e64 s0, 0, v8
	v_or_b32_e32 v23, 0x1000, v14
	v_med3_i32 v10, v10, 0, 13
	v_and_or_b32 v4, 0x1ff, v5, v4
	v_lshrrev_b32_e32 v11, 8, v5
	s_wait_alu 0xf1ff
	v_cndmask_b32_e64 v8, 0, 1, s0
	v_cmp_gt_i32_e64 s0, 31, v19
	v_lshrrev_b32_e32 v26, v10, v23
	v_and_b32_e32 v1, 0xffff, v1
	s_delay_alu instid0(VALU_DEP_4) | instskip(SKIP_4) | instid1(VALU_DEP_1)
	v_lshl_or_b32 v8, v8, 9, 0x7c00
	s_wait_alu 0xf1ff
	v_cndmask_b32_e64 v22, 0x7c00, v22, s0
	v_cmp_eq_u32_e64 s0, 0x40f, v19
	s_wait_alu 0xf1ff
	v_cndmask_b32_e64 v19, v22, v8, s0
	v_lshlrev_b32_e32 v8, v10, v26
	v_cmp_ne_u32_e64 s0, 0, v4
	v_mul_f16_e32 v10, v93, v16
	v_bfe_u32 v16, v5, 20, 11
	v_and_or_b32 v19, 0x8000, v27, v19
	v_lshrrev_b32_e32 v5, 16, v5
	s_wait_alu 0xf1ff
	v_cndmask_b32_e64 v4, 0, 1, s0
	v_cmp_ne_u32_e64 s0, v8, v23
	v_fma_f16 v10, v91, v20, -v10
	v_add_nc_u32_e32 v20, 0xfffffc10, v21
	v_lshl_or_b32 v1, v19, 16, v1
	v_and_or_b32 v21, 0xffe, v11, v4
	s_wait_alu 0xf1ff
	v_cndmask_b32_e64 v8, 0, 1, s0
	v_sub_nc_u32_e32 v4, 0x3f1, v16
	v_cvt_f32_f16_e32 v10, v10
	v_lshl_or_b32 v23, v20, 12, v14
	v_cmp_gt_i32_e64 s0, 1, v20
	v_or_b32_e32 v22, v26, v8
	v_or_b32_e32 v26, 0x1000, v21
	v_med3_i32 v4, v4, 0, 13
	v_cvt_f64_f32_e32 v[10:11], v10
	v_mul_f64_e32 v[8:9], s[10:11], v[12:13]
	s_wait_alu 0xf1ff
	v_cndmask_b32_e64 v12, v23, v22, s0
	s_mul_u64 s[0:1], s[4:5], 0x3b1
	v_lshrrev_b32_e32 v13, v4, v26
	s_wait_alu 0xfffe
	s_lshl_b64 s[6:7], s[0:1], 2
	v_add_nc_u32_e32 v16, 0xfffffc10, v16
	v_and_b32_e32 v18, 7, v12
	v_lshrrev_b32_e32 v12, 2, v12
	v_lshlrev_b32_e32 v4, v4, v13
	s_delay_alu instid0(VALU_DEP_3) | instskip(NEXT) | instid1(VALU_DEP_2)
	v_cmp_lt_i32_e64 s0, 5, v18
	v_cmp_ne_u32_e64 s1, v4, v26
	ds_load_2addr_b32 v[3:4], v3 offset0:124 offset1:250
	s_wait_alu 0xf1ff
	v_cndmask_b32_e64 v19, 0, 1, s1
	v_cmp_eq_u32_e64 s1, 3, v18
	v_lshl_or_b32 v18, v16, 12, v21
	s_delay_alu instid0(VALU_DEP_3) | instskip(NEXT) | instid1(VALU_DEP_3)
	v_or_b32_e32 v13, v13, v19
	s_or_b32 s0, s1, s0
	s_wait_alu 0xfffe
	v_add_co_ci_u32_e64 v12, s0, 0, v12, s0
	v_cmp_ne_u32_e64 s0, 0, v14
	s_wait_alu 0xf1ff
	s_delay_alu instid0(VALU_DEP_1)
	v_cndmask_b32_e64 v14, 0, 1, s0
	v_cmp_gt_i32_e64 s0, 1, v16
	s_wait_dscnt 0x0
	v_lshrrev_b32_e32 v19, 16, v3
	v_mul_f64_e32 v[10:11], s[10:11], v[10:11]
	v_lshl_or_b32 v14, v14, 9, 0x7c00
	s_wait_alu 0xf1ff
	v_cndmask_b32_e64 v13, v18, v13, s0
	v_add_co_u32 v6, s0, v6, s6
	s_wait_alu 0xf1ff
	v_add_co_ci_u32_e64 v7, s0, s7, v7, s0
	v_cmp_gt_i32_e64 s0, 31, v20
	v_and_or_b32 v8, 0x1ff, v9, v8
	v_and_b32_e32 v18, 7, v13
	v_bfe_u32 v22, v9, 20, 11
	v_lshrrev_b32_e32 v13, 2, v13
	s_wait_alu 0xf1ff
	v_cndmask_b32_e64 v12, 0x7c00, v12, s0
	v_cmp_eq_u32_e64 s0, 0x40f, v20
	v_cmp_ne_u32_e64 s1, 0, v8
	v_lshrrev_b32_e32 v20, 8, v9
	s_wait_alu 0xf1ff
	s_delay_alu instid0(VALU_DEP_3)
	v_cndmask_b32_e64 v14, v12, v14, s0
	v_mul_f16_e32 v12, v89, v19
	v_cndmask_b32_e64 v8, 0, 1, s1
	v_cmp_lt_i32_e64 s0, 5, v18
	v_cmp_eq_u32_e64 s1, 3, v18
	v_sub_nc_u32_e32 v18, 0x3f1, v22
	v_fmac_f16_e32 v12, v87, v3
	v_and_or_b32 v8, 0xffe, v20, v8
	v_mul_f16_e32 v3, v89, v3
	s_or_b32 s0, s1, s0
	v_med3_i32 v18, v18, 0, 13
	v_cvt_f32_f16_e32 v12, v12
	s_wait_alu 0xfffe
	v_add_co_ci_u32_e64 v20, s0, 0, v13, s0
	v_or_b32_e32 v23, 0x1000, v8
	v_cmp_ne_u32_e64 s0, 0, v21
	v_cvt_f64_f32_e32 v[12:13], v12
	v_fma_f16 v3, v87, v19, -v3
	v_and_or_b32 v27, 0x8000, v15, v14
	v_lshrrev_b32_e32 v26, v18, v23
	s_wait_alu 0xf1ff
	v_cndmask_b32_e64 v21, 0, 1, s0
	v_cmp_gt_i32_e64 s0, 31, v16
	v_and_or_b32 v10, 0x1ff, v11, v10
	v_cvt_f32_f16_e32 v3, v3
	v_lshlrev_b32_e32 v18, v18, v26
	v_lshl_or_b32 v21, v21, 9, 0x7c00
	s_wait_alu 0xf1ff
	v_cndmask_b32_e64 v20, 0x7c00, v20, s0
	v_cmp_eq_u32_e64 s0, 0x40f, v16
	s_wait_alu 0xf1ff
	s_delay_alu instid0(VALU_DEP_1)
	v_cndmask_b32_e64 v16, v20, v21, s0
	v_cmp_ne_u32_e64 s0, v18, v23
	v_add_nc_u32_e32 v18, 0xfffffc10, v22
	v_bfe_u32 v21, v11, 20, 11
	v_and_b32_e32 v22, 0xffff, v27
	v_and_or_b32 v5, 0x8000, v5, v16
	s_wait_alu 0xf1ff
	v_cndmask_b32_e64 v14, 0, 1, s0
	v_cmp_ne_u32_e64 s0, 0, v10
	v_lshl_or_b32 v20, v18, 12, v8
	v_lshl_or_b32 v5, v5, 16, v22
	s_delay_alu instid0(VALU_DEP_4)
	v_or_b32_e32 v19, v26, v14
	s_wait_alu 0xf1ff
	v_cndmask_b32_e64 v10, 0, 1, s0
	v_cvt_f64_f32_e32 v[14:15], v3
	v_cmp_gt_i32_e64 s0, 1, v18
	v_lshrrev_b32_e32 v3, 8, v11
	v_lshrrev_b32_e32 v11, 16, v11
	s_wait_alu 0xf1ff
	s_delay_alu instid0(VALU_DEP_3) | instskip(NEXT) | instid1(VALU_DEP_3)
	v_cndmask_b32_e64 v16, v20, v19, s0
	v_and_or_b32 v3, 0xffe, v3, v10
	v_sub_nc_u32_e32 v10, 0x3f1, v21
	s_movk_i32 s0, 0xfccd
	s_mov_b32 s1, -1
	v_and_b32_e32 v19, 7, v16
	v_or_b32_e32 v20, 0x1000, v3
	v_med3_i32 v10, v10, 0, 13
	v_mul_f64_e32 v[12:13], s[10:11], v[12:13]
	s_wait_alu 0xfffe
	s_mul_u64 s[2:3], s[4:5], s[0:1]
	v_cmp_lt_i32_e64 s0, 5, v19
	v_cmp_eq_u32_e64 s1, 3, v19
	v_lshrrev_b32_e32 v16, 2, v16
	v_lshrrev_b32_e32 v23, v10, v20
	s_wait_alu 0xfffe
	s_lshl_b64 s[4:5], s[2:3], 2
	s_or_b32 s0, s1, s0
	s_wait_alu 0xfffe
	v_add_co_ci_u32_e64 v16, s0, 0, v16, s0
	v_lshlrev_b32_e32 v10, v10, v23
	v_cmp_ne_u32_e64 s0, 0, v8
	s_wait_alu 0xf1ff
	s_delay_alu instid0(VALU_DEP_1) | instskip(NEXT) | instid1(VALU_DEP_3)
	v_cndmask_b32_e64 v8, 0, 1, s0
	v_cmp_ne_u32_e64 s0, v10, v20
	v_add_nc_u32_e32 v20, 0xfffffc10, v21
	v_lshrrev_b32_e32 v21, 16, v17
	s_delay_alu instid0(VALU_DEP_4)
	v_lshl_or_b32 v8, v8, 9, 0x7c00
	s_wait_alu 0xf1ff
	v_cndmask_b32_e64 v10, 0, 1, s0
	v_cmp_gt_i32_e64 s0, 31, v18
	v_lshl_or_b32 v19, v20, 12, v3
	v_mul_f16_e32 v22, v88, v21
	v_mul_f64_e32 v[14:15], s[10:11], v[14:15]
	v_or_b32_e32 v10, v23, v10
	s_wait_alu 0xf1ff
	v_cndmask_b32_e64 v16, 0x7c00, v16, s0
	v_cmp_gt_i32_e64 s0, 1, v20
	v_fmac_f16_e32 v22, v86, v17
	v_mul_f16_e32 v17, v88, v17
	s_wait_alu 0xf1ff
	s_delay_alu instid0(VALU_DEP_3)
	v_cndmask_b32_e64 v10, v19, v10, s0
	v_cmp_eq_u32_e64 s0, 0x40f, v18
	v_lshrrev_b32_e32 v18, 16, v9
	v_cvt_f32_f16_e32 v19, v22
	v_and_or_b32 v12, 0x1ff, v13, v12
	v_and_b32_e32 v23, 7, v10
	s_wait_alu 0xf1ff
	v_cndmask_b32_e64 v16, v16, v8, s0
	v_add_co_u32 v8, s0, v6, s4
	v_cmp_ne_u32_e64 s2, 0, v12
	s_wait_alu 0xf1ff
	v_add_co_ci_u32_e64 v9, s0, s5, v7, s0
	v_and_or_b32 v22, 0x8000, v18, v16
	v_cvt_f64_f32_e32 v[18:19], v19
	v_cmp_lt_i32_e64 s0, 5, v23
	v_cmp_eq_u32_e64 s1, 3, v23
	v_lshrrev_b32_e32 v10, 2, v10
	v_cndmask_b32_e64 v12, 0, 1, s2
	v_lshrrev_b32_e32 v16, 8, v13
	v_bfe_u32 v23, v13, 20, 11
	s_or_b32 s0, s1, s0
	v_fma_f16 v17, v86, v21, -v17
	s_wait_alu 0xfffe
	v_add_co_ci_u32_e64 v10, s0, 0, v10, s0
	v_and_or_b32 v12, 0xffe, v16, v12
	v_sub_nc_u32_e32 v16, 0x3f1, v23
	v_cmp_ne_u32_e64 s0, 0, v3
	s_clause 0x1
	global_store_b32 v[6:7], v1, off
	global_store_b32 v[8:9], v5, off
	v_lshrrev_b32_e32 v13, 16, v13
	v_or_b32_e32 v21, 0x1000, v12
	v_med3_i32 v26, v16, 0, 13
	s_wait_alu 0xf1ff
	v_cndmask_b32_e64 v3, 0, 1, s0
	v_cmp_gt_i32_e64 s0, 31, v20
	v_cvt_f32_f16_e32 v16, v17
	v_and_or_b32 v14, 0x1ff, v15, v14
	v_lshrrev_b32_e32 v27, v26, v21
	v_lshl_or_b32 v3, v3, 9, 0x7c00
	s_wait_alu 0xf1ff
	v_cndmask_b32_e64 v10, 0x7c00, v10, s0
	v_cmp_eq_u32_e64 s0, 0x40f, v20
	v_cvt_f64_f32_e32 v[16:17], v16
	v_lshrrev_b32_e32 v20, 8, v15
	s_wait_alu 0xf1ff
	s_delay_alu instid0(VALU_DEP_3)
	v_cndmask_b32_e64 v3, v10, v3, s0
	v_lshlrev_b32_e32 v10, v26, v27
	v_cmp_ne_u32_e64 s0, 0, v14
	v_bfe_u32 v26, v15, 20, 11
	v_lshrrev_b32_e32 v15, 16, v15
	v_and_or_b32 v3, 0x8000, v11, v3
	v_and_b32_e32 v11, 0xffff, v22
	s_wait_alu 0xf1ff
	v_cndmask_b32_e64 v14, 0, 1, s0
	v_cmp_ne_u32_e64 s0, v10, v21
	v_add_nc_u32_e32 v21, 0xfffffc10, v23
	v_mul_f64_e32 v[18:19], s[10:11], v[18:19]
	v_lshl_or_b32 v1, v3, 16, v11
	v_and_or_b32 v14, 0xffe, v20, v14
	s_wait_alu 0xf1ff
	v_cndmask_b32_e64 v10, 0, 1, s0
	v_sub_nc_u32_e32 v20, 0x3f1, v26
	v_lshl_or_b32 v23, v21, 12, v12
	v_cmp_gt_i32_e64 s0, 1, v21
	v_lshrrev_b32_e32 v11, 16, v4
	v_or_b32_e32 v10, v27, v10
	v_or_b32_e32 v27, 0x1000, v14
	v_med3_i32 v20, v20, 0, 13
	s_wait_alu 0xf1ff
	s_delay_alu instid0(VALU_DEP_3) | instskip(SKIP_1) | instid1(VALU_DEP_3)
	v_cndmask_b32_e64 v10, v23, v10, s0
	v_add_co_u32 v5, s0, v8, s6
	v_lshrrev_b32_e32 v22, v20, v27
	s_wait_alu 0xf1ff
	v_add_co_ci_u32_e64 v6, s0, s7, v9, s0
	v_and_b32_e32 v3, 7, v10
	s_delay_alu instid0(VALU_DEP_3)
	v_lshlrev_b32_e32 v7, v20, v22
	v_add_nc_u32_e32 v20, 0xfffffc10, v26
	global_store_b32 v[5:6], v1, off
	v_cmp_lt_i32_e64 s0, 5, v3
	v_cmp_eq_u32_e64 s1, 3, v3
	v_lshrrev_b32_e32 v3, 2, v10
	v_cmp_ne_u32_e64 s2, v7, v27
	v_mul_f64_e32 v[7:8], s[10:11], v[16:17]
	v_mul_f16_e32 v16, v85, v11
	s_or_b32 s0, s1, s0
	v_lshl_or_b32 v10, v20, 12, v14
	s_wait_alu 0xfffe
	v_add_co_ci_u32_e64 v3, s0, 0, v3, s0
	v_cndmask_b32_e64 v9, 0, 1, s2
	v_cmp_ne_u32_e64 s0, 0, v12
	v_fmac_f16_e32 v16, v83, v4
	v_mul_f16_e32 v4, v85, v4
	v_bfe_u32 v23, v19, 20, 11
	v_or_b32_e32 v9, v22, v9
	s_wait_alu 0xf1ff
	v_cndmask_b32_e64 v12, 0, 1, s0
	v_cmp_gt_i32_e64 s0, 1, v20
	v_lshrrev_b32_e32 v22, 8, v19
	v_fma_f16 v4, v83, v11, -v4
	s_delay_alu instid0(VALU_DEP_4)
	v_lshl_or_b32 v12, v12, 9, 0x7c00
	s_wait_alu 0xf1ff
	v_cndmask_b32_e64 v17, v10, v9, s0
	v_and_or_b32 v9, 0x1ff, v19, v18
	v_cmp_gt_i32_e64 s0, 31, v21
	v_cvt_f32_f16_e32 v10, v16
	v_cvt_f32_f16_e32 v4, v4
	v_and_b32_e32 v18, 7, v17
	s_wait_alu 0xf1ff
	v_cndmask_b32_e64 v3, 0x7c00, v3, s0
	v_cmp_ne_u32_e64 s0, 0, v9
	v_cvt_f64_f32_e32 v[9:10], v10
	v_cmp_eq_u32_e64 s1, 3, v18
	s_wait_alu 0xf1ff
	s_delay_alu instid0(VALU_DEP_3) | instskip(SKIP_1) | instid1(VALU_DEP_2)
	v_cndmask_b32_e64 v16, 0, 1, s0
	v_cmp_eq_u32_e64 s0, 0x40f, v21
	v_and_or_b32 v16, 0xffe, v22, v16
	s_wait_alu 0xf1ff
	s_delay_alu instid0(VALU_DEP_2)
	v_cndmask_b32_e64 v21, v3, v12, s0
	v_sub_nc_u32_e32 v3, 0x3f1, v23
	v_cmp_lt_i32_e64 s0, 5, v18
	v_lshrrev_b32_e32 v12, 2, v17
	v_or_b32_e32 v17, 0x1000, v16
	v_and_or_b32 v7, 0x1ff, v8, v7
	v_med3_i32 v3, v3, 0, 13
	s_or_b32 s0, s1, s0
	v_lshrrev_b32_e32 v11, 8, v8
	s_wait_alu 0xfffe
	v_add_co_ci_u32_e64 v12, s0, 0, v12, s0
	v_lshrrev_b32_e32 v18, v3, v17
	v_cmp_gt_i32_e64 s0, 31, v20
	v_bfe_u32 v26, v8, 20, 11
	v_and_or_b32 v1, 0x8000, v13, v21
	v_lshrrev_b32_e32 v8, 16, v8
	v_lshlrev_b32_e32 v3, v3, v18
	s_wait_alu 0xf1ff
	v_cndmask_b32_e64 v22, 0x7c00, v12, s0
	v_cmp_ne_u32_e64 s0, 0, v7
	v_add_nc_u32_e32 v21, 0xfffffc10, v26
	v_and_b32_e32 v1, 0xffff, v1
	s_wait_alu 0xf1ff
	s_delay_alu instid0(VALU_DEP_3) | instskip(SKIP_3) | instid1(VALU_DEP_4)
	v_cndmask_b32_e64 v7, 0, 1, s0
	v_cmp_ne_u32_e64 s0, v3, v17
	v_add_nc_u32_e32 v17, 0xfffffc10, v23
	v_cvt_f64_f32_e32 v[3:4], v4
	v_and_or_b32 v7, 0xffe, v11, v7
	s_wait_alu 0xf1ff
	v_cndmask_b32_e64 v12, 0, 1, s0
	v_sub_nc_u32_e32 v11, 0x3f1, v26
	v_cmp_ne_u32_e64 s0, 0, v14
	v_mul_f64_e32 v[9:10], s[10:11], v[9:10]
	v_or_b32_e32 v23, 0x1000, v7
	v_or_b32_e32 v12, v18, v12
	v_lshl_or_b32 v18, v17, 12, v16
	s_wait_alu 0xf1ff
	v_cndmask_b32_e64 v14, 0, 1, s0
	v_med3_i32 v27, v11, 0, 13
	v_cmp_gt_i32_e64 s0, 1, v17
	v_add_nc_u32_e32 v11, 0x1400, v69
	s_delay_alu instid0(VALU_DEP_4) | instskip(NEXT) | instid1(VALU_DEP_4)
	v_lshl_or_b32 v14, v14, 9, 0x7c00
	v_lshrrev_b32_e32 v28, v27, v23
	s_wait_alu 0xf1ff
	v_cndmask_b32_e64 v18, v18, v12, s0
	v_cmp_eq_u32_e64 s0, 0x40f, v20
	ds_load_2addr_b32 v[11:12], v11 offset0:43 offset1:169
	v_and_b32_e32 v20, 7, v18
	s_wait_alu 0xf1ff
	v_cndmask_b32_e64 v14, v22, v14, s0
	v_lshlrev_b32_e32 v22, v27, v28
	s_delay_alu instid0(VALU_DEP_3) | instskip(NEXT) | instid1(VALU_DEP_3)
	v_cmp_lt_i32_e64 s0, 5, v20
	v_and_or_b32 v15, 0x8000, v15, v14
	s_delay_alu instid0(VALU_DEP_3) | instskip(SKIP_3) | instid1(VALU_DEP_3)
	v_cmp_ne_u32_e64 s1, v22, v23
	v_lshrrev_b32_e32 v14, 2, v18
	v_lshl_or_b32 v18, v21, 12, v7
	s_wait_alu 0xf1ff
	v_cndmask_b32_e64 v13, 0, 1, s1
	v_cmp_eq_u32_e64 s1, 3, v20
	v_mul_f64_e32 v[3:4], s[10:11], v[3:4]
	s_delay_alu instid0(VALU_DEP_3) | instskip(NEXT) | instid1(VALU_DEP_3)
	v_or_b32_e32 v13, v28, v13
	s_or_b32 s0, s1, s0
	s_wait_dscnt 0x0
	v_lshrrev_b32_e32 v20, 16, v11
	s_wait_alu 0xfffe
	v_add_co_ci_u32_e64 v14, s0, 0, v14, s0
	v_cmp_gt_i32_e64 s0, 1, v21
	v_and_or_b32 v9, 0x1ff, v10, v9
	v_bfe_u32 v26, v10, 20, 11
	s_wait_alu 0xf1ff
	s_delay_alu instid0(VALU_DEP_3) | instskip(SKIP_3) | instid1(VALU_DEP_4)
	v_cndmask_b32_e64 v13, v18, v13, s0
	v_cmp_ne_u32_e64 s0, 0, v16
	v_mul_f16_e32 v18, v84, v20
	v_cmp_ne_u32_e64 s2, 0, v9
	v_and_b32_e32 v22, 7, v13
	s_wait_alu 0xf1ff
	v_cndmask_b32_e64 v16, 0, 1, s0
	v_cmp_gt_i32_e64 s0, 31, v17
	v_fmac_f16_e32 v18, v82, v11
	v_cndmask_b32_e64 v9, 0, 1, s2
	v_cmp_eq_u32_e64 s1, 3, v22
	v_lshl_or_b32 v16, v16, 9, 0x7c00
	s_wait_alu 0xf1ff
	v_cndmask_b32_e64 v23, 0x7c00, v14, s0
	v_cmp_lt_i32_e64 s0, 5, v22
	v_lshrrev_b32_e32 v22, 2, v13
	v_cvt_f32_f16_e32 v13, v18
	v_lshrrev_b32_e32 v18, 8, v10
	s_delay_alu instid0(VALU_DEP_4)
	s_or_b32 s0, s1, s0
	s_wait_alu 0xfffe
	v_add_co_ci_u32_e64 v22, s0, 0, v22, s0
	v_cmp_ne_u32_e64 s0, 0, v7
	v_cvt_f64_f32_e32 v[13:14], v13
	v_and_or_b32 v9, 0xffe, v18, v9
	v_sub_nc_u32_e32 v18, 0x3f1, v26
	s_wait_alu 0xf1ff
	v_cndmask_b32_e64 v7, 0, 1, s0
	v_cmp_gt_i32_e64 s0, 31, v21
	v_or_b32_e32 v27, 0x1000, v9
	v_med3_i32 v18, v18, 0, 13
	v_and_or_b32 v3, 0x1ff, v4, v3
	v_lshl_or_b32 v7, v7, 9, 0x7c00
	s_wait_alu 0xf1ff
	v_cndmask_b32_e64 v22, 0x7c00, v22, s0
	v_cmp_eq_u32_e64 s0, 0x40f, v17
	v_lshrrev_b32_e32 v17, 16, v19
	v_lshrrev_b32_e32 v19, v18, v27
	s_wait_alu 0xf1ff
	s_delay_alu instid0(VALU_DEP_3) | instskip(SKIP_3) | instid1(VALU_DEP_4)
	v_cndmask_b32_e64 v16, v23, v16, s0
	v_cmp_eq_u32_e64 s0, 0x40f, v21
	v_lshl_or_b32 v21, v15, 16, v1
	v_lshlrev_b32_e32 v1, v18, v19
	v_and_or_b32 v15, 0x8000, v17, v16
	s_wait_alu 0xf1ff
	v_cndmask_b32_e64 v7, v22, v7, s0
	s_delay_alu instid0(VALU_DEP_3) | instskip(NEXT) | instid1(VALU_DEP_3)
	v_cmp_ne_u32_e64 s0, v1, v27
	v_and_b32_e32 v15, 0xffff, v15
	s_delay_alu instid0(VALU_DEP_3)
	v_and_or_b32 v16, 0x8000, v8, v7
	v_mul_f16_e32 v7, v84, v11
	s_wait_alu 0xf1ff
	v_cndmask_b32_e64 v1, 0, 1, s0
	v_cmp_ne_u32_e64 s0, 0, v3
	v_lshrrev_b32_e32 v8, 8, v4
	v_bfe_u32 v11, v4, 20, 11
	v_fma_f16 v7, v82, v20, -v7
	v_or_b32_e32 v17, v19, v1
	s_wait_alu 0xf1ff
	v_cndmask_b32_e64 v3, 0, 1, s0
	v_add_nc_u32_e32 v20, 0xfffffc10, v26
	v_sub_nc_u32_e32 v18, 0x3f1, v11
	v_cvt_f32_f16_e32 v1, v7
	v_lshl_or_b32 v23, v16, 16, v15
	v_and_or_b32 v3, 0xffe, v8, v3
	v_mul_f64_e32 v[7:8], s[10:11], v[13:14]
	v_lshl_or_b32 v19, v20, 12, v9
	v_cvt_f64_f32_e32 v[13:14], v1
	v_cmp_gt_i32_e64 s0, 1, v20
	v_or_b32_e32 v22, 0x1000, v3
	v_med3_i32 v18, v18, 0, 13
	ds_load_2addr_b32 v[1:2], v2 offset0:120 offset1:246
	v_add_nc_u32_e32 v11, 0xfffffc10, v11
	s_wait_alu 0xf1ff
	v_cndmask_b32_e64 v17, v19, v17, s0
	v_add_co_u32 v5, s0, v5, s4
	v_lshrrev_b32_e32 v19, v18, v22
	s_wait_alu 0xf1ff
	v_add_co_ci_u32_e64 v6, s0, s5, v6, s0
	v_and_b32_e32 v26, 7, v17
	v_add_co_u32 v15, s0, v5, s6
	v_lshlrev_b32_e32 v18, v18, v19
	s_wait_alu 0xf1ff
	v_add_co_ci_u32_e64 v16, s0, s7, v6, s0
	v_cmp_lt_i32_e64 s0, 5, v26
	v_cmp_eq_u32_e64 s1, 3, v26
	v_lshrrev_b32_e32 v17, 2, v17
	v_cmp_ne_u32_e64 s2, v18, v22
	global_store_b32 v[5:6], v21, off
	global_store_b32 v[15:16], v23, off
	v_lshrrev_b32_e32 v23, 16, v12
	s_or_b32 s0, s1, s0
	s_wait_dscnt 0x0
	v_lshrrev_b32_e32 v22, 16, v1
	s_wait_alu 0xfffe
	v_add_co_ci_u32_e64 v17, s0, 0, v17, s0
	v_cndmask_b32_e64 v18, 0, 1, s2
	v_cmp_ne_u32_e64 s0, 0, v9
	v_mul_f16_e32 v26, v81, v22
	s_delay_alu instid0(VALU_DEP_3)
	v_or_b32_e32 v18, v19, v18
	v_lshl_or_b32 v19, v11, 12, v3
	s_wait_alu 0xf1ff
	v_cndmask_b32_e64 v9, 0, 1, s0
	v_cmp_gt_i32_e64 s0, 1, v11
	v_fmac_f16_e32 v26, v80, v1
	v_and_or_b32 v7, 0x1ff, v8, v7
	v_mul_f64_e32 v[13:14], s[10:11], v[13:14]
	v_lshl_or_b32 v9, v9, 9, 0x7c00
	s_wait_alu 0xf1ff
	v_cndmask_b32_e64 v19, v19, v18, s0
	v_cmp_gt_i32_e64 s0, 31, v20
	v_bfe_u32 v29, v8, 20, 11
	v_lshrrev_b32_e32 v28, 8, v8
	v_mul_f16_e32 v1, v81, v1
	s_wait_alu 0xf1ff
	v_cndmask_b32_e64 v27, 0x7c00, v17, s0
	v_cvt_f32_f16_e32 v17, v26
	v_cmp_ne_u32_e64 s0, 0, v7
	v_and_b32_e32 v26, 7, v19
	v_fma_f16 v1, v80, v22, -v1
	s_delay_alu instid0(VALU_DEP_4)
	v_cvt_f64_f32_e32 v[17:18], v17
	s_wait_alu 0xf1ff
	v_cndmask_b32_e64 v7, 0, 1, s0
	v_cmp_eq_u32_e64 s0, 0x40f, v20
	v_cmp_eq_u32_e64 s1, 3, v26
	v_cvt_f32_f16_e32 v1, v1
	s_delay_alu instid0(VALU_DEP_4)
	v_and_or_b32 v7, 0xffe, v28, v7
	s_wait_alu 0xf1ff
	v_cndmask_b32_e64 v20, v27, v9, s0
	v_cmp_lt_i32_e64 s0, 5, v26
	v_lshrrev_b32_e32 v27, 16, v10
	v_sub_nc_u32_e32 v9, 0x3f1, v29
	v_lshrrev_b32_e32 v10, 2, v19
	v_or_b32_e32 v19, 0x1000, v7
	s_or_b32 s0, s1, s0
	s_delay_alu instid0(VALU_DEP_3) | instskip(SKIP_3) | instid1(VALU_DEP_3)
	v_med3_i32 v26, v9, 0, 13
	s_wait_alu 0xfffe
	v_add_co_ci_u32_e64 v9, s0, 0, v10, s0
	v_cmp_ne_u32_e64 s0, 0, v3
	v_lshrrev_b32_e32 v22, v26, v19
	s_wait_alu 0xf1ff
	s_delay_alu instid0(VALU_DEP_2) | instskip(SKIP_1) | instid1(VALU_DEP_2)
	v_cndmask_b32_e64 v3, 0, 1, s0
	v_cmp_gt_i32_e64 s0, 31, v11
	v_lshl_or_b32 v3, v3, 9, 0x7c00
	s_wait_alu 0xf1ff
	s_delay_alu instid0(VALU_DEP_2)
	v_cndmask_b32_e64 v28, 0x7c00, v9, s0
	v_cvt_f64_f32_e32 v[9:10], v1
	v_and_or_b32 v1, 0x8000, v27, v20
	v_lshlrev_b32_e32 v20, v26, v22
	v_cmp_eq_u32_e64 s0, 0x40f, v11
	v_lshrrev_b32_e32 v27, 8, v14
	s_delay_alu instid0(VALU_DEP_4) | instskip(SKIP_1) | instid1(VALU_DEP_3)
	v_and_b32_e32 v1, 0xffff, v1
	s_wait_alu 0xf1ff
	v_cndmask_b32_e64 v11, v28, v3, s0
	v_and_or_b32 v3, 0x1ff, v14, v13
	v_cmp_ne_u32_e64 s0, v20, v19
	v_lshrrev_b32_e32 v13, 16, v4
	v_add_nc_u32_e32 v20, 0xfffffc10, v29
	s_wait_alu 0xf1ff
	s_delay_alu instid0(VALU_DEP_3)
	v_cndmask_b32_e64 v19, 0, 1, s0
	v_cmp_ne_u32_e64 s0, 0, v3
	v_mul_f64_e32 v[3:4], s[10:11], v[17:18]
	v_bfe_u32 v17, v14, 20, 11
	v_and_or_b32 v11, 0x8000, v13, v11
	v_or_b32_e32 v13, v22, v19
	s_wait_alu 0xf1ff
	v_cndmask_b32_e64 v26, 0, 1, s0
	v_lshl_or_b32 v18, v20, 12, v7
	v_sub_nc_u32_e32 v22, 0x3f1, v17
	v_cmp_gt_i32_e64 s0, 1, v20
	v_lshl_or_b32 v1, v11, 16, v1
	v_and_or_b32 v19, 0xffe, v27, v26
	v_add_nc_u32_e32 v17, 0xfffffc10, v17
	v_med3_i32 v22, v22, 0, 13
	s_wait_alu 0xf1ff
	v_cndmask_b32_e64 v13, v18, v13, s0
	v_add_co_u32 v5, s0, v15, s4
	v_or_b32_e32 v18, 0x1000, v19
	s_wait_alu 0xf1ff
	v_add_co_ci_u32_e64 v6, s0, s5, v16, s0
	v_and_b32_e32 v11, 7, v13
	v_lshrrev_b32_e32 v13, 2, v13
	v_lshrrev_b32_e32 v21, v22, v18
	v_mul_f64_e32 v[9:10], s[10:11], v[9:10]
	global_store_b32 v[5:6], v1, off
	v_cmp_lt_i32_e64 s0, 5, v11
	v_cmp_eq_u32_e64 s1, 3, v11
	v_lshlrev_b32_e32 v15, v22, v21
	v_mul_f16_e32 v11, v79, v23
	v_lshrrev_b32_e32 v14, 16, v14
	s_delay_alu instid0(VALU_DEP_4) | instskip(NEXT) | instid1(VALU_DEP_3)
	s_or_b32 s0, s1, s0
	v_cmp_ne_u32_e64 s2, v15, v18
	s_wait_alu 0xfffe
	v_add_co_ci_u32_e64 v13, s0, 0, v13, s0
	v_fmac_f16_e32 v11, v78, v12
	v_cmp_ne_u32_e64 s0, 0, v7
	s_wait_alu 0xf1ff
	v_cndmask_b32_e64 v15, 0, 1, s2
	s_delay_alu instid0(VALU_DEP_3) | instskip(SKIP_1) | instid1(VALU_DEP_3)
	v_cvt_f32_f16_e32 v11, v11
	v_and_or_b32 v3, 0x1ff, v4, v3
	v_or_b32_e32 v18, v21, v15
	v_lshl_or_b32 v21, v17, 12, v19
	v_cndmask_b32_e64 v7, 0, 1, s0
	v_cmp_gt_i32_e64 s0, 1, v17
	v_cvt_f64_f32_e32 v[15:16], v11
	s_delay_alu instid0(VALU_DEP_3) | instskip(SKIP_1) | instid1(VALU_DEP_3)
	v_lshl_or_b32 v7, v7, 9, 0x7c00
	s_wait_alu 0xf1ff
	v_cndmask_b32_e64 v11, v21, v18, s0
	v_cmp_ne_u32_e64 s0, 0, v3
	v_lshrrev_b32_e32 v18, 8, v4
	v_bfe_u32 v21, v4, 20, 11
	v_lshrrev_b32_e32 v4, 16, v4
	v_and_b32_e32 v22, 7, v11
	s_wait_alu 0xf1ff
	v_cndmask_b32_e64 v3, 0, 1, s0
	v_cmp_gt_i32_e64 s0, 31, v20
	s_delay_alu instid0(VALU_DEP_3) | instskip(NEXT) | instid1(VALU_DEP_3)
	v_cmp_eq_u32_e64 s1, 3, v22
	v_and_or_b32 v3, 0xffe, v18, v3
	s_wait_alu 0xf1ff
	s_delay_alu instid0(VALU_DEP_3)
	v_cndmask_b32_e64 v13, 0x7c00, v13, s0
	v_sub_nc_u32_e32 v18, 0x3f1, v21
	v_cmp_eq_u32_e64 s0, 0x40f, v20
	v_lshrrev_b32_e32 v20, 16, v8
	v_lshrrev_b32_e32 v8, 2, v11
	v_and_or_b32 v9, 0x1ff, v10, v9
	v_med3_i32 v18, v18, 0, 13
	s_wait_alu 0xf1ff
	v_cndmask_b32_e64 v13, v13, v7, s0
	v_or_b32_e32 v7, 0x1000, v3
	v_cmp_lt_i32_e64 s0, 5, v22
	v_mul_f16_e32 v11, v79, v12
	v_lshrrev_b32_e32 v12, 8, v10
	v_add_nc_u32_e32 v21, 0xfffffc10, v21
	v_lshrrev_b32_e32 v22, v18, v7
	s_or_b32 s0, s1, s0
	v_fma_f16 v11, v78, v23, -v11
	s_wait_alu 0xfffe
	v_add_co_ci_u32_e64 v26, s0, 0, v8, s0
	v_lshlrev_b32_e32 v8, v18, v22
	v_cmp_ne_u32_e64 s0, 0, v9
	v_bfe_u32 v18, v10, 20, 11
	v_cvt_f32_f16_e32 v11, v11
	v_and_or_b32 v1, 0x8000, v20, v13
	s_wait_alu 0xf1ff
	v_cndmask_b32_e64 v9, 0, 1, s0
	v_cmp_ne_u32_e64 s0, v8, v7
	v_sub_nc_u32_e32 v27, 0x3f1, v18
	v_mul_f64_e32 v[7:8], s[10:11], v[15:16]
	v_add_nc_u32_e32 v18, 0xfffffc10, v18
	v_and_or_b32 v9, 0xffe, v12, v9
	s_wait_alu 0xf1ff
	v_cndmask_b32_e64 v23, 0, 1, s0
	v_cmp_ne_u32_e64 s0, 0, v19
	v_lshl_or_b32 v19, v21, 12, v3
	v_cvt_f64_f32_e32 v[11:12], v11
	s_delay_alu instid0(VALU_DEP_4)
	v_or_b32_e32 v16, v22, v23
	s_wait_alu 0xf1ff
	v_cndmask_b32_e64 v15, 0, 1, s0
	v_cmp_gt_i32_e64 s0, 31, v17
	v_or_b32_e32 v22, 0x1000, v9
	v_med3_i32 v23, v27, 0, 13
	s_delay_alu instid0(VALU_DEP_4) | instskip(SKIP_4) | instid1(VALU_DEP_1)
	v_lshl_or_b32 v15, v15, 9, 0x7c00
	s_wait_alu 0xf1ff
	v_cndmask_b32_e64 v26, 0x7c00, v26, s0
	v_cmp_gt_i32_e64 s0, 1, v21
	s_wait_alu 0xf1ff
	v_cndmask_b32_e64 v16, v19, v16, s0
	v_lshrrev_b32_e32 v19, v23, v22
	v_cmp_eq_u32_e64 s0, 0x40f, v17
	s_delay_alu instid0(VALU_DEP_3) | instskip(NEXT) | instid1(VALU_DEP_3)
	v_and_b32_e32 v17, 7, v16
	v_lshlrev_b32_e32 v23, v23, v19
	s_wait_alu 0xf1ff
	s_delay_alu instid0(VALU_DEP_3) | instskip(NEXT) | instid1(VALU_DEP_3)
	v_cndmask_b32_e64 v15, v26, v15, s0
	v_cmp_lt_i32_e64 s0, 5, v17
	s_delay_alu instid0(VALU_DEP_3) | instskip(NEXT) | instid1(VALU_DEP_3)
	v_cmp_ne_u32_e64 s1, v23, v22
	v_and_or_b32 v15, 0x8000, v14, v15
	v_lshl_or_b32 v14, v18, 12, v9
	s_wait_alu 0xf1ff
	s_delay_alu instid0(VALU_DEP_3)
	v_cndmask_b32_e64 v13, 0, 1, s1
	v_cmp_eq_u32_e64 s1, 3, v17
	v_and_b32_e32 v17, 0xffff, v1
	v_lshrrev_b32_e32 v1, 2, v16
	v_and_or_b32 v7, 0x1ff, v8, v7
	v_or_b32_e32 v13, v19, v13
	s_or_b32 s0, s1, s0
	v_lshrrev_b32_e32 v16, 16, v2
	s_wait_alu 0xfffe
	v_add_co_ci_u32_e64 v1, s0, 0, v1, s0
	v_cmp_ne_u32_e64 s0, 0, v3
	v_mul_f64_e32 v[11:12], s[10:11], v[11:12]
	v_lshrrev_b32_e32 v20, 8, v8
	v_bfe_u32 v22, v8, 20, 11
	v_lshl_or_b32 v17, v15, 16, v17
	s_wait_alu 0xf1ff
	v_cndmask_b32_e64 v3, 0, 1, s0
	v_cmp_gt_i32_e64 s0, 1, v18
	v_lshrrev_b32_e32 v8, 16, v8
	s_delay_alu instid0(VALU_DEP_3) | instskip(SKIP_1) | instid1(VALU_DEP_3)
	v_lshl_or_b32 v3, v3, 9, 0x7c00
	s_wait_alu 0xf1ff
	v_cndmask_b32_e64 v13, v14, v13, s0
	v_cmp_gt_i32_e64 s0, 31, v21
	v_mul_f16_e32 v14, v77, v16
	s_delay_alu instid0(VALU_DEP_3) | instskip(SKIP_1) | instid1(VALU_DEP_3)
	v_and_b32_e32 v19, 7, v13
	s_wait_alu 0xf1ff
	v_cndmask_b32_e64 v1, 0x7c00, v1, s0
	v_cmp_ne_u32_e64 s0, 0, v7
	v_fmac_f16_e32 v14, v76, v2
	v_cmp_eq_u32_e64 s1, 3, v19
	s_wait_alu 0xf1ff
	s_delay_alu instid0(VALU_DEP_3) | instskip(SKIP_1) | instid1(VALU_DEP_2)
	v_cndmask_b32_e64 v7, 0, 1, s0
	v_cmp_eq_u32_e64 s0, 0x40f, v21
	v_and_or_b32 v7, 0xffe, v20, v7
	s_wait_alu 0xf1ff
	s_delay_alu instid0(VALU_DEP_2)
	v_cndmask_b32_e64 v1, v1, v3, s0
	v_cvt_f32_f16_e32 v3, v14
	v_cmp_lt_i32_e64 s0, 5, v19
	v_lshrrev_b32_e32 v19, 2, v13
	v_sub_nc_u32_e32 v20, 0x3f1, v22
	v_and_or_b32 v23, 0x8000, v4, v1
	v_cvt_f64_f32_e32 v[13:14], v3
	s_or_b32 s0, s1, s0
	v_or_b32_e32 v3, 0x1000, v7
	s_wait_alu 0xfffe
	v_add_co_ci_u32_e64 v19, s0, 0, v19, s0
	v_med3_i32 v20, v20, 0, 13
	v_cmp_ne_u32_e64 s0, 0, v9
	v_mul_f16_e32 v1, v77, v2
	v_and_or_b32 v4, 0x1ff, v12, v11
	v_add_nc_u32_e32 v11, 0xfffffc10, v22
	v_lshrrev_b32_e32 v21, v20, v3
	s_wait_alu 0xf1ff
	v_cndmask_b32_e64 v9, 0, 1, s0
	v_cmp_gt_i32_e64 s0, 31, v18
	v_fma_f16 v1, v76, v16, -v1
	v_bfe_u32 v16, v12, 20, 11
	v_lshlrev_b32_e32 v2, v20, v21
	v_lshl_or_b32 v9, v9, 9, 0x7c00
	s_wait_alu 0xf1ff
	v_cndmask_b32_e64 v19, 0x7c00, v19, s0
	v_cmp_eq_u32_e64 s0, 0x40f, v18
	v_cvt_f32_f16_e32 v1, v1
	v_sub_nc_u32_e32 v26, 0x3f1, v16
	s_wait_alu 0xf1ff
	s_delay_alu instid0(VALU_DEP_3)
	v_cndmask_b32_e64 v18, v19, v9, s0
	v_cmp_ne_u32_e64 s0, v2, v3
	v_cvt_f64_f32_e32 v[1:2], v1
	v_lshrrev_b32_e32 v19, 16, v10
	v_lshrrev_b32_e32 v9, 8, v12
	v_add_nc_u32_e32 v10, 0x1800, v69
	s_wait_alu 0xf1ff
	v_cndmask_b32_e64 v3, 0, 1, s0
	v_cmp_ne_u32_e64 s0, 0, v4
	v_and_or_b32 v15, 0x8000, v19, v18
	v_and_b32_e32 v18, 0xffff, v23
	s_delay_alu instid0(VALU_DEP_4)
	v_or_b32_e32 v20, v21, v3
	s_wait_alu 0xf1ff
	v_cndmask_b32_e64 v4, 0, 1, s0
	v_lshl_or_b32 v21, v11, 12, v7
	v_cmp_gt_i32_e64 s0, 1, v11
	v_lshl_or_b32 v18, v15, 16, v18
	s_delay_alu instid0(VALU_DEP_4)
	v_and_or_b32 v22, 0xffe, v9, v4
	ds_load_2addr_b32 v[3:4], v10 offset0:39 offset1:165
	v_mul_f64_e32 v[9:10], s[10:11], v[13:14]
	v_med3_i32 v14, v26, 0, 13
	s_wait_alu 0xf1ff
	v_cndmask_b32_e64 v20, v21, v20, s0
	v_or_b32_e32 v13, 0x1000, v22
	v_add_co_u32 v5, s0, v5, s6
	s_wait_alu 0xf1ff
	v_add_co_ci_u32_e64 v6, s0, s7, v6, s0
	s_delay_alu instid0(VALU_DEP_3) | instskip(SKIP_3) | instid1(VALU_DEP_4)
	v_lshrrev_b32_e32 v21, v14, v13
	v_and_b32_e32 v19, 7, v20
	v_lshrrev_b32_e32 v15, 2, v20
	v_add_nc_u32_e32 v20, 0xfffffc10, v16
	v_lshlrev_b32_e32 v14, v14, v21
	s_delay_alu instid0(VALU_DEP_4) | instskip(SKIP_1) | instid1(VALU_DEP_4)
	v_cmp_lt_i32_e64 s0, 5, v19
	v_cmp_eq_u32_e64 s1, 3, v19
	v_lshl_or_b32 v16, v20, 12, v22
	s_delay_alu instid0(VALU_DEP_4)
	v_cmp_ne_u32_e64 s2, v14, v13
	s_wait_dscnt 0x0
	v_lshrrev_b32_e32 v19, 16, v3
	s_or_b32 s0, s1, s0
	v_mul_f64_e32 v[1:2], s[10:11], v[1:2]
	s_wait_alu 0xfffe
	v_add_co_ci_u32_e64 v15, s0, 0, v15, s0
	v_cndmask_b32_e64 v13, 0, 1, s2
	v_mul_f16_e32 v14, v75, v19
	v_cmp_ne_u32_e64 s0, 0, v7
	s_delay_alu instid0(VALU_DEP_3) | instskip(NEXT) | instid1(VALU_DEP_3)
	v_or_b32_e32 v13, v21, v13
	v_fmac_f16_e32 v14, v74, v3
	s_wait_alu 0xf1ff
	s_delay_alu instid0(VALU_DEP_3) | instskip(SKIP_2) | instid1(VALU_DEP_3)
	v_cndmask_b32_e64 v7, 0, 1, s0
	v_cmp_gt_i32_e64 s0, 1, v20
	v_mul_f16_e32 v3, v75, v3
	v_lshl_or_b32 v7, v7, 9, 0x7c00
	s_wait_alu 0xf1ff
	s_delay_alu instid0(VALU_DEP_3)
	v_cndmask_b32_e64 v21, v16, v13, s0
	v_cvt_f32_f16_e32 v13, v14
	v_cmp_gt_i32_e64 s0, 31, v11
	v_and_or_b32 v9, 0x1ff, v10, v9
	v_fma_f16 v3, v74, v19, -v3
	v_and_b32_e32 v26, 7, v21
	v_cvt_f64_f32_e32 v[13:14], v13
	s_wait_alu 0xf1ff
	v_cndmask_b32_e64 v23, 0x7c00, v15, s0
	v_add_co_u32 v15, s0, v5, s4
	s_wait_alu 0xf1ff
	v_add_co_ci_u32_e64 v16, s0, s5, v6, s0
	v_cmp_eq_u32_e64 s0, 0x40f, v11
	v_cmp_ne_u32_e64 s1, 0, v9
	v_lshrrev_b32_e32 v21, 2, v21
	v_lshrrev_b32_e32 v11, 8, v10
	v_cvt_f32_f16_e32 v3, v3
	s_wait_alu 0xf1ff
	v_cndmask_b32_e64 v7, v23, v7, s0
	v_cmp_lt_i32_e64 s0, 5, v26
	v_cndmask_b32_e64 v9, 0, 1, s1
	v_cmp_eq_u32_e64 s1, 3, v26
	v_bfe_u32 v23, v10, 20, 11
	v_and_or_b32 v1, 0x1ff, v2, v1
	v_and_or_b32 v27, 0x8000, v8, v7
	;; [unrolled: 1-line block ×3, first 2 shown]
	s_or_b32 s0, s1, s0
	v_sub_nc_u32_e32 v11, 0x3f1, v23
	s_wait_alu 0xfffe
	v_add_co_ci_u32_e64 v21, s0, 0, v21, s0
	v_cmp_ne_u32_e64 s0, 0, v22
	v_or_b32_e32 v26, 0x1000, v9
	v_med3_i32 v11, v11, 0, 13
	v_add_nc_u32_e32 v19, 0xfffffc10, v23
	global_store_b32 v[5:6], v17, off
	global_store_b32 v[15:16], v18, off
	s_wait_alu 0xf1ff
	v_cndmask_b32_e64 v22, 0, 1, s0
	v_cmp_gt_i32_e64 s0, 31, v20
	v_lshrrev_b32_e32 v28, v11, v26
	v_lshl_or_b32 v23, v19, 12, v9
	v_cmp_eq_u32_e64 s2, 0x40f, v19
	v_lshl_or_b32 v22, v22, 9, 0x7c00
	s_wait_alu 0xf1ff
	v_cndmask_b32_e64 v21, 0x7c00, v21, s0
	v_cmp_eq_u32_e64 s0, 0x40f, v20
	v_lshlrev_b32_e32 v11, v11, v28
	v_lshrrev_b32_e32 v10, 16, v10
	v_mul_f64_e32 v[7:8], s[10:11], v[13:14]
	s_wait_alu 0xf1ff
	v_cndmask_b32_e64 v20, v21, v22, s0
	v_cmp_ne_u32_e64 s0, 0, v1
	v_lshrrev_b32_e32 v21, 16, v12
	v_lshrrev_b32_e32 v12, 8, v2
	v_bfe_u32 v22, v2, 20, 11
	v_lshrrev_b32_e32 v2, 16, v2
	s_wait_alu 0xf1ff
	v_cndmask_b32_e64 v1, 0, 1, s0
	v_cmp_ne_u32_e64 s0, v11, v26
	v_sub_nc_u32_e32 v13, 0x3f1, v22
	s_delay_alu instid0(VALU_DEP_3) | instskip(SKIP_1) | instid1(VALU_DEP_3)
	v_and_or_b32 v1, 0xffe, v12, v1
	s_wait_alu 0xf1ff
	v_cndmask_b32_e64 v11, 0, 1, s0
	v_cmp_gt_i32_e64 s0, 1, v19
	s_delay_alu instid0(VALU_DEP_3) | instskip(NEXT) | instid1(VALU_DEP_3)
	v_or_b32_e32 v26, 0x1000, v1
	v_or_b32_e32 v14, v28, v11
	v_cvt_f64_f32_e32 v[11:12], v3
	v_med3_i32 v3, v13, 0, 13
	v_and_or_b32 v13, 0x8000, v21, v20
	v_and_b32_e32 v20, 0xffff, v27
	s_wait_alu 0xf1ff
	v_cndmask_b32_e64 v14, v23, v14, s0
	v_add_co_u32 v5, s0, v15, s6
	v_lshrrev_b32_e32 v21, v3, v26
	v_lshl_or_b32 v17, v13, 16, v20
	s_delay_alu instid0(VALU_DEP_4)
	v_and_b32_e32 v13, 7, v14
	v_lshrrev_b32_e32 v15, 16, v0
	s_wait_alu 0xf1ff
	v_add_co_ci_u32_e64 v6, s0, s7, v16, s0
	v_lshlrev_b32_e32 v3, v3, v21
	v_cmp_lt_i32_e64 s0, 5, v13
	v_add_nc_u32_e32 v16, 0xfffffc10, v22
	v_mul_f16_e32 v18, v73, v15
	s_delay_alu instid0(VALU_DEP_4) | instskip(SKIP_1) | instid1(VALU_DEP_3)
	v_cmp_ne_u32_e64 s1, v3, v26
	v_and_or_b32 v7, 0x1ff, v8, v7
	v_fmac_f16_e32 v18, v72, v0
	s_wait_alu 0xf1ff
	s_delay_alu instid0(VALU_DEP_3) | instskip(SKIP_3) | instid1(VALU_DEP_4)
	v_cndmask_b32_e64 v3, 0, 1, s1
	v_cmp_eq_u32_e64 s1, 3, v13
	v_lshrrev_b32_e32 v13, 2, v14
	v_lshl_or_b32 v14, v16, 12, v1
	v_or_b32_e32 v3, v21, v3
	s_delay_alu instid0(VALU_DEP_4)
	s_or_b32 s0, s1, s0
	v_bfe_u32 v21, v8, 20, 11
	s_wait_alu 0xfffe
	v_add_co_ci_u32_e64 v20, s0, 0, v13, s0
	v_cmp_gt_i32_e64 s0, 1, v16
	v_cvt_f32_f16_e32 v13, v18
	v_lshrrev_b32_e32 v18, 8, v8
	s_wait_alu 0xf1ff
	s_delay_alu instid0(VALU_DEP_3) | instskip(SKIP_3) | instid1(VALU_DEP_4)
	v_cndmask_b32_e64 v3, v14, v3, s0
	v_cmp_ne_u32_e64 s0, 0, v7
	v_cvt_f64_f32_e32 v[13:14], v13
	v_mul_f64_e32 v[11:12], s[10:11], v[11:12]
	v_and_b32_e32 v22, 7, v3
	s_wait_alu 0xf1ff
	v_cndmask_b32_e64 v7, 0, 1, s0
	v_cmp_ne_u32_e64 s0, 0, v9
	v_lshrrev_b32_e32 v3, 2, v3
	v_cmp_eq_u32_e64 s1, 3, v22
	s_delay_alu instid0(VALU_DEP_4)
	v_and_or_b32 v7, 0xffe, v18, v7
	s_wait_alu 0xf1ff
	v_cndmask_b32_e64 v9, 0, 1, s0
	v_cmp_gt_i32_e64 s0, 31, v19
	v_sub_nc_u32_e32 v18, 0x3f1, v21
	v_or_b32_e32 v23, 0x1000, v7
	s_delay_alu instid0(VALU_DEP_4) | instskip(SKIP_4) | instid1(VALU_DEP_3)
	v_lshl_or_b32 v9, v9, 9, 0x7c00
	s_wait_alu 0xf1ff
	v_cndmask_b32_e64 v20, 0x7c00, v20, s0
	v_cmp_lt_i32_e64 s0, 5, v22
	v_med3_i32 v18, v18, 0, 13
	v_cndmask_b32_e64 v9, v20, v9, s2
	s_delay_alu instid0(VALU_DEP_3) | instskip(NEXT) | instid1(VALU_DEP_2)
	s_or_b32 s0, s1, s0
	v_lshrrev_b32_e32 v19, v18, v23
	s_wait_alu 0xfffe
	v_add_co_ci_u32_e64 v3, s0, 0, v3, s0
	v_cmp_ne_u32_e64 s0, 0, v1
	v_add_nc_u32_e32 v20, 0xfffffc10, v21
	v_lshlrev_b32_e32 v18, v18, v19
	v_and_or_b32 v9, 0x8000, v10, v9
	s_wait_alu 0xf1ff
	v_cndmask_b32_e64 v1, 0, 1, s0
	v_cmp_gt_i32_e64 s0, 31, v16
	s_delay_alu instid0(VALU_DEP_3) | instskip(NEXT) | instid1(VALU_DEP_3)
	v_and_b32_e32 v9, 0xffff, v9
	v_lshl_or_b32 v1, v1, 9, 0x7c00
	s_wait_alu 0xf1ff
	s_delay_alu instid0(VALU_DEP_3) | instskip(SKIP_3) | instid1(VALU_DEP_2)
	v_cndmask_b32_e64 v3, 0x7c00, v3, s0
	v_cmp_ne_u32_e64 s0, v18, v23
	v_and_or_b32 v11, 0x1ff, v12, v11
	s_wait_alu 0xf1ff
	v_cndmask_b32_e64 v18, 0, 1, s0
	v_cmp_eq_u32_e64 s0, 0x40f, v16
	v_mul_f16_e32 v16, v73, v0
	s_delay_alu instid0(VALU_DEP_3) | instskip(SKIP_1) | instid1(VALU_DEP_3)
	v_or_b32_e32 v10, v19, v18
	s_wait_alu 0xf1ff
	v_cndmask_b32_e64 v3, v3, v1, s0
	v_mul_f64_e32 v[0:1], s[10:11], v[13:14]
	v_lshl_or_b32 v13, v20, 12, v7
	v_fma_f16 v14, v72, v15, -v16
	v_cmp_gt_i32_e64 s0, 1, v20
	v_bfe_u32 v15, v12, 20, 11
	v_and_or_b32 v16, 0x8000, v2, v3
	s_wait_alu 0xf1ff
	s_delay_alu instid0(VALU_DEP_3)
	v_cndmask_b32_e64 v10, v13, v10, s0
	v_cmp_ne_u32_e64 s0, 0, v11
	v_cvt_f32_f16_e32 v13, v14
	v_lshrrev_b32_e32 v14, 8, v12
	v_lshl_or_b32 v16, v16, 16, v9
	v_and_b32_e32 v18, 7, v10
	s_wait_alu 0xf1ff
	v_cndmask_b32_e64 v11, 0, 1, s0
	v_cvt_f64_f32_e32 v[2:3], v13
	v_sub_nc_u32_e32 v13, 0x3f1, v15
	v_lshrrev_b32_e32 v9, 2, v10
	v_cmp_lt_i32_e64 s0, 5, v18
	v_and_or_b32 v11, 0xffe, v14, v11
	v_lshrrev_b32_e32 v14, 16, v4
	v_cmp_eq_u32_e64 s1, 3, v18
	v_med3_i32 v13, v13, 0, 13
	v_add_nc_u32_e32 v15, 0xfffffc10, v15
	v_or_b32_e32 v19, 0x1000, v11
	v_mul_f16_e32 v21, v71, v14
	s_or_b32 s0, s1, s0
	s_wait_alu 0xfffe
	v_add_co_ci_u32_e64 v9, s0, 0, v9, s0
	v_lshrrev_b32_e32 v18, v13, v19
	v_fmac_f16_e32 v21, v70, v4
	v_cmp_ne_u32_e64 s0, 0, v7
	v_mul_f16_e32 v4, v71, v4
	s_delay_alu instid0(VALU_DEP_4) | instskip(NEXT) | instid1(VALU_DEP_4)
	v_lshlrev_b32_e32 v13, v13, v18
	v_cvt_f32_f16_e32 v10, v21
	s_wait_alu 0xf1ff
	v_cndmask_b32_e64 v7, 0, 1, s0
	v_cmp_gt_i32_e64 s0, 31, v20
	v_and_or_b32 v0, 0x1ff, v1, v0
	v_fma_f16 v4, v70, v14, -v4
	v_lshl_or_b32 v14, v15, 12, v11
	v_lshl_or_b32 v7, v7, 9, 0x7c00
	s_wait_alu 0xf1ff
	v_cndmask_b32_e64 v21, 0x7c00, v9, s0
	v_cvt_f64_f32_e32 v[9:10], v10
	v_cmp_ne_u32_e64 s0, v13, v19
	v_lshrrev_b32_e32 v19, 8, v1
	v_cvt_f32_f16_e32 v4, v4
	s_wait_alu 0xf1ff
	s_delay_alu instid0(VALU_DEP_3) | instskip(SKIP_2) | instid1(VALU_DEP_3)
	v_cndmask_b32_e64 v13, 0, 1, s0
	v_cmp_ne_u32_e64 s0, 0, v0
	v_mul_f64_e32 v[2:3], s[10:11], v[2:3]
	v_or_b32_e32 v13, v18, v13
	s_wait_alu 0xf1ff
	s_delay_alu instid0(VALU_DEP_3) | instskip(SKIP_3) | instid1(VALU_DEP_4)
	v_cndmask_b32_e64 v0, 0, 1, s0
	v_bfe_u32 v18, v1, 20, 11
	v_cmp_gt_i32_e64 s0, 1, v15
	v_lshrrev_b32_e32 v1, 16, v1
	v_and_or_b32 v0, 0xffe, v19, v0
	s_delay_alu instid0(VALU_DEP_4)
	v_sub_nc_u32_e32 v19, 0x3f1, v18
	s_wait_alu 0xf1ff
	v_cndmask_b32_e64 v22, v14, v13, s0
	v_cmp_eq_u32_e64 s0, 0x40f, v20
	v_cvt_f64_f32_e32 v[13:14], v4
	v_or_b32_e32 v23, 0x1000, v0
	v_med3_i32 v19, v19, 0, 13
	v_lshrrev_b32_e32 v20, 16, v8
	s_wait_alu 0xf1ff
	v_cndmask_b32_e64 v4, v21, v7, s0
	v_and_b32_e32 v21, 7, v22
	v_add_co_u32 v7, s0, v5, s4
	v_lshrrev_b32_e32 v26, v19, v23
	s_wait_alu 0xf1ff
	v_add_co_ci_u32_e64 v8, s0, s5, v6, s0
	v_cmp_lt_i32_e64 s0, 5, v21
	v_cmp_eq_u32_e64 s1, 3, v21
	v_and_or_b32 v4, 0x8000, v20, v4
	v_lshrrev_b32_e32 v20, 2, v22
	v_lshlrev_b32_e32 v19, v19, v26
	v_add_nc_u32_e32 v18, 0xfffffc10, v18
	s_or_b32 s0, s1, s0
	v_mul_f64_e32 v[9:10], s[10:11], v[9:10]
	s_wait_alu 0xfffe
	v_add_co_ci_u32_e64 v20, s0, 0, v20, s0
	v_cmp_ne_u32_e64 s2, v19, v23
	v_cmp_ne_u32_e64 s0, 0, v11
	v_lshl_or_b32 v21, v18, 12, v0
	v_and_b32_e32 v4, 0xffff, v4
	s_wait_alu 0xf1ff
	v_cndmask_b32_e64 v19, 0, 1, s2
	v_cndmask_b32_e64 v11, 0, 1, s0
	v_cmp_gt_i32_e64 s0, 31, v15
	v_and_or_b32 v2, 0x1ff, v3, v2
	v_lshrrev_b32_e32 v22, 8, v3
	v_or_b32_e32 v19, v26, v19
	v_lshl_or_b32 v11, v11, 9, 0x7c00
	s_wait_alu 0xf1ff
	v_cndmask_b32_e64 v20, 0x7c00, v20, s0
	v_cmp_gt_i32_e64 s0, 1, v18
	s_wait_alu 0xf1ff
	s_delay_alu instid0(VALU_DEP_1) | instskip(SKIP_1) | instid1(VALU_DEP_2)
	v_cndmask_b32_e64 v19, v21, v19, s0
	v_cmp_eq_u32_e64 s0, 0x40f, v15
	v_and_b32_e32 v21, 7, v19
	s_wait_alu 0xf1ff
	s_delay_alu instid0(VALU_DEP_2)
	v_cndmask_b32_e64 v15, v20, v11, s0
	v_lshrrev_b32_e32 v20, 16, v12
	v_cmp_ne_u32_e64 s0, 0, v2
	v_mul_f64_e32 v[11:12], s[10:11], v[13:14]
	v_bfe_u32 v13, v3, 20, 11
	v_cmp_eq_u32_e64 s1, 3, v21
	v_and_or_b32 v14, 0x8000, v20, v15
	s_wait_alu 0xf1ff
	v_cndmask_b32_e64 v2, 0, 1, s0
	v_cmp_lt_i32_e64 s0, 5, v21
	v_sub_nc_u32_e32 v15, 0x3f1, v13
	v_add_nc_u32_e32 v13, 0xfffffc10, v13
	v_lshl_or_b32 v4, v14, 16, v4
	v_lshrrev_b32_e32 v14, 2, v19
	v_and_or_b32 v2, 0xffe, v22, v2
	s_or_b32 s0, s1, s0
	v_med3_i32 v15, v15, 0, 13
	v_and_or_b32 v9, 0x1ff, v10, v9
	s_wait_alu 0xfffe
	v_add_co_ci_u32_e64 v14, s0, 0, v14, s0
	v_or_b32_e32 v19, 0x1000, v2
	v_cmp_ne_u32_e64 s0, 0, v0
	v_lshrrev_b32_e32 v21, 8, v10
	v_bfe_u32 v22, v10, 20, 11
	v_lshrrev_b32_e32 v3, 16, v3
	v_lshrrev_b32_e32 v20, v15, v19
	s_wait_alu 0xf1ff
	v_cndmask_b32_e64 v0, 0, 1, s0
	v_cmp_gt_i32_e64 s0, 31, v18
	v_lshrrev_b32_e32 v10, 16, v10
	v_lshlrev_b32_e32 v15, v15, v20
	s_delay_alu instid0(VALU_DEP_4) | instskip(SKIP_4) | instid1(VALU_DEP_1)
	v_lshl_or_b32 v0, v0, 9, 0x7c00
	s_wait_alu 0xf1ff
	v_cndmask_b32_e64 v14, 0x7c00, v14, s0
	v_cmp_ne_u32_e64 s0, 0, v9
	s_wait_alu 0xf1ff
	v_cndmask_b32_e64 v9, 0, 1, s0
	v_cmp_ne_u32_e64 s0, v15, v19
	v_sub_nc_u32_e32 v19, 0x3f1, v22
	v_and_or_b32 v11, 0x1ff, v12, v11
	s_delay_alu instid0(VALU_DEP_4)
	v_and_or_b32 v9, 0xffe, v21, v9
	s_wait_alu 0xf1ff
	v_cndmask_b32_e64 v15, 0, 1, s0
	v_cmp_eq_u32_e64 s0, 0x40f, v18
	v_med3_i32 v19, v19, 0, 13
	v_bfe_u32 v21, v12, 20, 11
	v_or_b32_e32 v18, 0x1000, v9
	s_wait_alu 0xf1ff
	v_cndmask_b32_e64 v0, v14, v0, s0
	v_or_b32_e32 v14, v20, v15
	v_lshl_or_b32 v15, v13, 12, v2
	v_cmp_gt_i32_e64 s0, 1, v13
	v_lshrrev_b32_e32 v20, 8, v12
	v_and_or_b32 v0, 0x8000, v1, v0
	s_wait_alu 0xf1ff
	s_delay_alu instid0(VALU_DEP_3) | instskip(SKIP_3) | instid1(VALU_DEP_4)
	v_cndmask_b32_e64 v14, v15, v14, s0
	v_lshrrev_b32_e32 v15, v19, v18
	v_cmp_ne_u32_e64 s0, 0, v11
	v_and_b32_e32 v0, 0xffff, v0
	v_and_b32_e32 v23, 7, v14
	s_delay_alu instid0(VALU_DEP_4)
	v_lshlrev_b32_e32 v19, v19, v15
	s_wait_alu 0xf1ff
	v_cndmask_b32_e64 v11, 0, 1, s0
	v_lshrrev_b32_e32 v14, 2, v14
	v_cmp_lt_i32_e64 s0, 5, v23
	v_cmp_ne_u32_e64 s1, v19, v18
	s_delay_alu instid0(VALU_DEP_4)
	v_and_or_b32 v1, 0xffe, v20, v11
	v_sub_nc_u32_e32 v11, 0x3f1, v21
	v_add_nc_u32_e32 v20, 0xfffffc10, v22
	s_wait_alu 0xf1ff
	v_cndmask_b32_e64 v18, 0, 1, s1
	v_cmp_eq_u32_e64 s1, 3, v23
	v_or_b32_e32 v19, 0x1000, v1
	v_med3_i32 v11, v11, 0, 13
	v_lshl_or_b32 v22, v20, 12, v9
	v_or_b32_e32 v15, v15, v18
	s_or_b32 s0, s1, s0
	s_wait_alu 0xfffe
	v_add_co_ci_u32_e64 v14, s0, 0, v14, s0
	v_lshrrev_b32_e32 v18, v11, v19
	v_cmp_gt_i32_e64 s0, 1, v20
	s_delay_alu instid0(VALU_DEP_2) | instskip(SKIP_1) | instid1(VALU_DEP_2)
	v_lshlrev_b32_e32 v11, v11, v18
	s_wait_alu 0xf1ff
	v_cndmask_b32_e64 v15, v22, v15, s0
	v_cmp_ne_u32_e64 s0, 0, v2
	s_wait_alu 0xf1ff
	s_delay_alu instid0(VALU_DEP_1) | instskip(SKIP_3) | instid1(VALU_DEP_4)
	v_cndmask_b32_e64 v2, 0, 1, s0
	v_cmp_ne_u32_e64 s0, v11, v19
	v_add_nc_u32_e32 v19, 0xfffffc10, v21
	v_and_b32_e32 v21, 7, v15
	v_lshl_or_b32 v2, v2, 9, 0x7c00
	s_wait_alu 0xf1ff
	v_cndmask_b32_e64 v11, 0, 1, s0
	v_cmp_gt_i32_e64 s0, 31, v13
	v_cmp_gt_i32_e64 s2, 1, v19
	v_cmp_eq_u32_e64 s1, 3, v21
	s_delay_alu instid0(VALU_DEP_4) | instskip(SKIP_4) | instid1(VALU_DEP_3)
	v_or_b32_e32 v11, v18, v11
	v_lshl_or_b32 v18, v19, 12, v1
	s_wait_alu 0xf1ff
	v_cndmask_b32_e64 v14, 0x7c00, v14, s0
	v_cmp_lt_i32_e64 s0, 5, v21
	v_cndmask_b32_e64 v11, v18, v11, s2
	v_cmp_eq_u32_e64 s2, 0x40f, v13
	v_lshrrev_b32_e32 v13, 2, v15
	s_delay_alu instid0(VALU_DEP_4) | instskip(NEXT) | instid1(VALU_DEP_2)
	s_or_b32 s0, s1, s0
	v_cndmask_b32_e64 v2, v14, v2, s2
	s_wait_alu 0xfffe
	s_delay_alu instid0(VALU_DEP_2) | instskip(SKIP_4) | instid1(VALU_DEP_4)
	v_add_co_ci_u32_e64 v13, s0, 0, v13, s0
	v_and_b32_e32 v14, 7, v11
	v_cmp_ne_u32_e64 s0, 0, v9
	v_lshrrev_b32_e32 v11, 2, v11
	v_cmp_gt_i32_e64 s2, 31, v20
	v_cmp_eq_u32_e64 s1, 3, v14
	s_wait_alu 0xf1ff
	v_cndmask_b32_e64 v9, 0, 1, s0
	v_cmp_lt_i32_e64 s0, 5, v14
	v_cndmask_b32_e64 v13, 0x7c00, v13, s2
	s_delay_alu instid0(VALU_DEP_3) | instskip(NEXT) | instid1(VALU_DEP_3)
	v_lshl_or_b32 v9, v9, 9, 0x7c00
	s_or_b32 s0, s1, s0
	s_wait_alu 0xfffe
	v_add_co_ci_u32_e64 v11, s0, 0, v11, s0
	v_cmp_ne_u32_e64 s0, 0, v1
	s_wait_alu 0xf1ff
	s_delay_alu instid0(VALU_DEP_1) | instskip(SKIP_1) | instid1(VALU_DEP_2)
	v_cndmask_b32_e64 v1, 0, 1, s0
	v_cmp_eq_u32_e64 s0, 0x40f, v20
	v_lshl_or_b32 v1, v1, 9, 0x7c00
	s_wait_alu 0xf1ff
	s_delay_alu instid0(VALU_DEP_2) | instskip(SKIP_2) | instid1(VALU_DEP_3)
	v_cndmask_b32_e64 v9, v13, v9, s0
	v_cmp_gt_i32_e64 s0, 31, v19
	v_and_or_b32 v13, 0x8000, v3, v2
	v_and_or_b32 v9, 0x8000, v10, v9
	s_wait_alu 0xf1ff
	s_delay_alu instid0(VALU_DEP_3) | instskip(SKIP_3) | instid1(VALU_DEP_2)
	v_cndmask_b32_e64 v11, 0x7c00, v11, s0
	v_cmp_eq_u32_e64 s0, 0x40f, v19
	v_lshrrev_b32_e32 v10, 16, v12
	s_wait_alu 0xf1ff
	v_cndmask_b32_e64 v1, v11, v1, s0
	v_add_co_u32 v2, s0, v7, s6
	s_wait_alu 0xf1ff
	v_add_co_ci_u32_e64 v3, s0, s7, v8, s0
	v_lshl_or_b32 v11, v13, 16, v0
	v_and_or_b32 v0, 0x8000, v10, v1
	v_and_b32_e32 v1, 0xffff, v9
	v_add_co_u32 v9, s0, v2, s4
	s_wait_alu 0xf1ff
	v_add_co_ci_u32_e64 v10, s0, s5, v3, s0
	s_delay_alu instid0(VALU_DEP_3) | instskip(NEXT) | instid1(VALU_DEP_3)
	v_lshl_or_b32 v12, v0, 16, v1
	v_add_co_u32 v0, s0, v9, s6
	s_wait_alu 0xf1ff
	s_delay_alu instid0(VALU_DEP_3)
	v_add_co_ci_u32_e64 v1, s0, s7, v10, s0
	global_store_b32 v[5:6], v17, off
	global_store_b32 v[7:8], v16, off
	;; [unrolled: 1-line block ×5, first 2 shown]
	s_and_b32 exec_lo, exec_lo, vcc_lo
	s_cbranch_execz .LBB0_23
; %bb.22:
	global_load_b32 v2, v[24:25], off offset:3528
	ds_load_b32 v3, v69 offset:3528
	ds_load_b32 v6, v69 offset:7308
	s_wait_dscnt 0x1
	v_lshrrev_b32_e32 v4, 16, v3
	s_wait_loadcnt 0x0
	v_lshrrev_b32_e32 v5, 16, v2
	s_delay_alu instid0(VALU_DEP_1) | instskip(SKIP_1) | instid1(VALU_DEP_2)
	v_mul_f16_e32 v7, v4, v5
	v_mul_f16_e32 v5, v3, v5
	v_fmac_f16_e32 v7, v3, v2
	s_delay_alu instid0(VALU_DEP_2) | instskip(NEXT) | instid1(VALU_DEP_2)
	v_fma_f16 v2, v2, v4, -v5
	v_cvt_f32_f16_e32 v3, v7
	s_delay_alu instid0(VALU_DEP_2) | instskip(NEXT) | instid1(VALU_DEP_2)
	v_cvt_f32_f16_e32 v4, v2
	v_cvt_f64_f32_e32 v[2:3], v3
	s_delay_alu instid0(VALU_DEP_2) | instskip(NEXT) | instid1(VALU_DEP_2)
	v_cvt_f64_f32_e32 v[4:5], v4
	v_mul_f64_e32 v[2:3], s[10:11], v[2:3]
	s_delay_alu instid0(VALU_DEP_2) | instskip(NEXT) | instid1(VALU_DEP_2)
	v_mul_f64_e32 v[4:5], s[10:11], v[4:5]
	v_and_or_b32 v2, 0x1ff, v3, v2
	s_delay_alu instid0(VALU_DEP_2)
	v_and_or_b32 v4, 0x1ff, v5, v4
	v_lshrrev_b32_e32 v7, 8, v3
	v_bfe_u32 v8, v3, 20, 11
	v_lshrrev_b32_e32 v9, 8, v5
	v_cmp_ne_u32_e32 vcc_lo, 0, v2
	v_bfe_u32 v10, v5, 20, 11
	v_lshrrev_b32_e32 v3, 16, v3
	v_sub_nc_u32_e32 v11, 0x3f1, v8
	v_lshrrev_b32_e32 v5, 16, v5
	s_wait_alu 0xfffd
	v_cndmask_b32_e64 v2, 0, 1, vcc_lo
	v_cmp_ne_u32_e32 vcc_lo, 0, v4
	s_delay_alu instid0(VALU_DEP_2) | instskip(SKIP_3) | instid1(VALU_DEP_2)
	v_and_or_b32 v2, 0xffe, v7, v2
	s_wait_alu 0xfffd
	v_cndmask_b32_e64 v4, 0, 1, vcc_lo
	v_sub_nc_u32_e32 v7, 0x3f1, v10
	v_and_or_b32 v4, 0xffe, v9, v4
	v_med3_i32 v9, v11, 0, 13
	v_or_b32_e32 v11, 0x1000, v2
	s_delay_alu instid0(VALU_DEP_4) | instskip(NEXT) | instid1(VALU_DEP_4)
	v_med3_i32 v7, v7, 0, 13
	v_or_b32_e32 v12, 0x1000, v4
	s_delay_alu instid0(VALU_DEP_3) | instskip(NEXT) | instid1(VALU_DEP_2)
	v_lshrrev_b32_e32 v13, v9, v11
	v_lshrrev_b32_e32 v14, v7, v12
	s_delay_alu instid0(VALU_DEP_2) | instskip(NEXT) | instid1(VALU_DEP_2)
	v_lshlrev_b32_e32 v9, v9, v13
	v_lshlrev_b32_e32 v7, v7, v14
	s_delay_alu instid0(VALU_DEP_2) | instskip(SKIP_2) | instid1(VALU_DEP_3)
	v_cmp_ne_u32_e32 vcc_lo, v9, v11
	s_wait_alu 0xfffd
	v_cndmask_b32_e64 v9, 0, 1, vcc_lo
	v_cmp_ne_u32_e32 vcc_lo, v7, v12
	s_delay_alu instid0(VALU_DEP_2) | instskip(SKIP_3) | instid1(VALU_DEP_2)
	v_or_b32_e32 v9, v13, v9
	v_add_nc_u32_e32 v8, 0xfffffc10, v8
	s_wait_alu 0xfffd
	v_cndmask_b32_e64 v7, 0, 1, vcc_lo
	v_lshl_or_b32 v11, v8, 12, v2
	s_delay_alu instid0(VALU_DEP_2) | instskip(SKIP_2) | instid1(VALU_DEP_2)
	v_or_b32_e32 v7, v14, v7
	v_add_nc_u32_e32 v10, 0xfffffc10, v10
	v_cmp_gt_i32_e32 vcc_lo, 1, v8
	v_lshl_or_b32 v12, v10, 12, v4
	s_wait_alu 0xfffd
	v_cndmask_b32_e32 v9, v11, v9, vcc_lo
	v_cmp_gt_i32_e32 vcc_lo, 1, v10
	s_wait_alu 0xfffd
	v_cndmask_b32_e32 v7, v12, v7, vcc_lo
	v_cmp_ne_u32_e32 vcc_lo, 0, v2
	s_wait_alu 0xfffd
	v_cndmask_b32_e64 v2, 0, 1, vcc_lo
	v_cmp_ne_u32_e32 vcc_lo, 0, v4
	s_delay_alu instid0(VALU_DEP_2) | instskip(SKIP_4) | instid1(VALU_DEP_3)
	v_lshl_or_b32 v2, v2, 9, 0x7c00
	v_and_b32_e32 v11, 7, v9
	s_wait_alu 0xfffd
	v_cndmask_b32_e64 v4, 0, 1, vcc_lo
	v_lshrrev_b32_e32 v9, 2, v9
	v_cmp_lt_i32_e32 vcc_lo, 5, v11
	v_cmp_eq_u32_e64 s0, 3, v11
	s_delay_alu instid0(VALU_DEP_4) | instskip(NEXT) | instid1(VALU_DEP_2)
	v_lshl_or_b32 v4, v4, 9, 0x7c00
	s_or_b32 vcc_lo, s0, vcc_lo
	s_wait_alu 0xfffe
	v_add_co_ci_u32_e32 v9, vcc_lo, 0, v9, vcc_lo
	v_and_b32_e32 v12, 7, v7
	v_lshrrev_b32_e32 v7, 2, v7
	s_delay_alu instid0(VALU_DEP_2) | instskip(SKIP_1) | instid1(VALU_DEP_1)
	v_cmp_lt_i32_e64 s1, 5, v12
	v_cmp_eq_u32_e64 s2, 3, v12
	s_or_b32 vcc_lo, s2, s1
	s_wait_alu 0xfffe
	v_add_co_ci_u32_e32 v7, vcc_lo, 0, v7, vcc_lo
	v_cmp_gt_i32_e32 vcc_lo, 31, v8
	s_wait_alu 0xfffd
	v_cndmask_b32_e32 v9, 0x7c00, v9, vcc_lo
	v_cmp_gt_i32_e32 vcc_lo, 31, v10
	s_wait_alu 0xfffd
	v_cndmask_b32_e32 v7, 0x7c00, v7, vcc_lo
	v_cmp_eq_u32_e32 vcc_lo, 0x40f, v8
	s_wait_alu 0xfffd
	v_cndmask_b32_e32 v2, v9, v2, vcc_lo
	v_cmp_eq_u32_e32 vcc_lo, 0x40f, v10
	s_delay_alu instid0(VALU_DEP_2)
	v_and_or_b32 v2, 0x8000, v3, v2
	s_wait_alu 0xfffd
	v_cndmask_b32_e32 v4, v7, v4, vcc_lo
	v_add_co_u32 v0, vcc_lo, v0, s4
	s_wait_alu 0xfffd
	v_add_co_ci_u32_e32 v1, vcc_lo, s5, v1, vcc_lo
	s_delay_alu instid0(VALU_DEP_3) | instskip(SKIP_1) | instid1(VALU_DEP_1)
	v_and_or_b32 v3, 0x8000, v5, v4
	v_and_b32_e32 v2, 0xffff, v2
	v_lshl_or_b32 v2, v3, 16, v2
	s_wait_dscnt 0x0
	v_lshrrev_b32_e32 v3, 16, v6
	global_store_b32 v[0:1], v2, off
	global_load_b32 v2, v[24:25], off offset:7308
	s_wait_loadcnt 0x0
	v_lshrrev_b32_e32 v4, 16, v2
	s_delay_alu instid0(VALU_DEP_1) | instskip(SKIP_1) | instid1(VALU_DEP_2)
	v_mul_f16_e32 v5, v3, v4
	v_mul_f16_e32 v4, v6, v4
	v_fmac_f16_e32 v5, v6, v2
	s_delay_alu instid0(VALU_DEP_2) | instskip(NEXT) | instid1(VALU_DEP_2)
	v_fma_f16 v2, v2, v3, -v4
	v_cvt_f32_f16_e32 v3, v5
	s_delay_alu instid0(VALU_DEP_2) | instskip(NEXT) | instid1(VALU_DEP_2)
	v_cvt_f32_f16_e32 v4, v2
	v_cvt_f64_f32_e32 v[2:3], v3
	s_delay_alu instid0(VALU_DEP_2) | instskip(NEXT) | instid1(VALU_DEP_2)
	v_cvt_f64_f32_e32 v[4:5], v4
	v_mul_f64_e32 v[2:3], s[10:11], v[2:3]
	s_delay_alu instid0(VALU_DEP_2) | instskip(NEXT) | instid1(VALU_DEP_2)
	v_mul_f64_e32 v[4:5], s[10:11], v[4:5]
	v_and_or_b32 v2, 0x1ff, v3, v2
	s_delay_alu instid0(VALU_DEP_2)
	v_and_or_b32 v4, 0x1ff, v5, v4
	v_lshrrev_b32_e32 v6, 8, v3
	v_bfe_u32 v7, v3, 20, 11
	v_lshrrev_b32_e32 v8, 8, v5
	v_cmp_ne_u32_e32 vcc_lo, 0, v2
	v_bfe_u32 v9, v5, 20, 11
	v_lshrrev_b32_e32 v3, 16, v3
	v_sub_nc_u32_e32 v10, 0x3f1, v7
	v_lshrrev_b32_e32 v5, 16, v5
	s_wait_alu 0xfffd
	v_cndmask_b32_e64 v2, 0, 1, vcc_lo
	v_cmp_ne_u32_e32 vcc_lo, 0, v4
	s_delay_alu instid0(VALU_DEP_2) | instskip(SKIP_4) | instid1(VALU_DEP_3)
	v_and_or_b32 v2, 0xffe, v6, v2
	s_wait_alu 0xfffd
	v_cndmask_b32_e64 v4, 0, 1, vcc_lo
	v_sub_nc_u32_e32 v6, 0x3f1, v9
	v_add_nc_u32_e32 v9, 0xfffffc10, v9
	v_and_or_b32 v4, 0xffe, v8, v4
	v_med3_i32 v8, v10, 0, 13
	v_or_b32_e32 v10, 0x1000, v2
	v_med3_i32 v6, v6, 0, 13
	s_delay_alu instid0(VALU_DEP_4) | instskip(NEXT) | instid1(VALU_DEP_3)
	v_or_b32_e32 v11, 0x1000, v4
	v_lshrrev_b32_e32 v12, v8, v10
	s_delay_alu instid0(VALU_DEP_2) | instskip(NEXT) | instid1(VALU_DEP_2)
	v_lshrrev_b32_e32 v13, v6, v11
	v_lshlrev_b32_e32 v8, v8, v12
	s_delay_alu instid0(VALU_DEP_2) | instskip(NEXT) | instid1(VALU_DEP_2)
	v_lshlrev_b32_e32 v6, v6, v13
	v_cmp_ne_u32_e32 vcc_lo, v8, v10
	s_wait_alu 0xfffd
	v_cndmask_b32_e64 v8, 0, 1, vcc_lo
	s_delay_alu instid0(VALU_DEP_3) | instskip(SKIP_1) | instid1(VALU_DEP_3)
	v_cmp_ne_u32_e32 vcc_lo, v6, v11
	v_lshl_or_b32 v11, v9, 12, v4
	v_or_b32_e32 v8, v12, v8
	s_wait_alu 0xfffd
	v_cndmask_b32_e64 v6, 0, 1, vcc_lo
	s_delay_alu instid0(VALU_DEP_1) | instskip(SKIP_1) | instid1(VALU_DEP_1)
	v_or_b32_e32 v6, v13, v6
	v_add_nc_u32_e32 v7, 0xfffffc10, v7
	v_lshl_or_b32 v10, v7, 12, v2
	v_cmp_gt_i32_e32 vcc_lo, 1, v7
	s_wait_alu 0xfffd
	s_delay_alu instid0(VALU_DEP_2) | instskip(SKIP_1) | instid1(VALU_DEP_2)
	v_cndmask_b32_e32 v8, v10, v8, vcc_lo
	v_cmp_gt_i32_e32 vcc_lo, 1, v9
	v_and_b32_e32 v10, 7, v8
	s_wait_alu 0xfffd
	v_cndmask_b32_e32 v6, v11, v6, vcc_lo
	v_cmp_ne_u32_e32 vcc_lo, 0, v2
	v_lshrrev_b32_e32 v8, 2, v8
	v_cmp_eq_u32_e64 s0, 3, v10
	s_wait_alu 0xfffd
	v_cndmask_b32_e64 v2, 0, 1, vcc_lo
	v_cmp_ne_u32_e32 vcc_lo, 0, v4
	s_delay_alu instid0(VALU_DEP_2) | instskip(SKIP_3) | instid1(VALU_DEP_2)
	v_lshl_or_b32 v2, v2, 9, 0x7c00
	s_wait_alu 0xfffd
	v_cndmask_b32_e64 v4, 0, 1, vcc_lo
	v_cmp_lt_i32_e32 vcc_lo, 5, v10
	v_lshl_or_b32 v4, v4, 9, 0x7c00
	s_or_b32 vcc_lo, s0, vcc_lo
	s_wait_alu 0xfffe
	v_add_co_ci_u32_e32 v8, vcc_lo, 0, v8, vcc_lo
	v_and_b32_e32 v11, 7, v6
	v_lshrrev_b32_e32 v6, 2, v6
	s_delay_alu instid0(VALU_DEP_2) | instskip(SKIP_1) | instid1(VALU_DEP_1)
	v_cmp_lt_i32_e64 s1, 5, v11
	v_cmp_eq_u32_e64 s2, 3, v11
	s_or_b32 vcc_lo, s2, s1
	s_wait_alu 0xfffe
	v_add_co_ci_u32_e32 v6, vcc_lo, 0, v6, vcc_lo
	v_cmp_gt_i32_e32 vcc_lo, 31, v7
	s_wait_alu 0xfffd
	v_cndmask_b32_e32 v8, 0x7c00, v8, vcc_lo
	v_cmp_gt_i32_e32 vcc_lo, 31, v9
	s_wait_alu 0xfffd
	v_cndmask_b32_e32 v6, 0x7c00, v6, vcc_lo
	v_cmp_eq_u32_e32 vcc_lo, 0x40f, v7
	s_wait_alu 0xfffd
	v_cndmask_b32_e32 v2, v8, v2, vcc_lo
	v_cmp_eq_u32_e32 vcc_lo, 0x40f, v9
	s_delay_alu instid0(VALU_DEP_2)
	v_and_or_b32 v2, 0x8000, v3, v2
	s_wait_alu 0xfffd
	v_cndmask_b32_e32 v4, v6, v4, vcc_lo
	v_add_co_u32 v0, vcc_lo, v0, s6
	s_wait_alu 0xfffd
	v_add_co_ci_u32_e32 v1, vcc_lo, s7, v1, vcc_lo
	s_delay_alu instid0(VALU_DEP_3) | instskip(SKIP_1) | instid1(VALU_DEP_1)
	v_and_or_b32 v3, 0x8000, v5, v4
	v_and_b32_e32 v2, 0xffff, v2
	v_lshl_or_b32 v2, v3, 16, v2
	global_store_b32 v[0:1], v2, off
.LBB0_23:
	s_nop 0
	s_sendmsg sendmsg(MSG_DEALLOC_VGPRS)
	s_endpgm
	.section	.rodata,"a",@progbits
	.p2align	6, 0x0
	.amdhsa_kernel bluestein_single_fwd_len1890_dim1_half_op_CI_CI
		.amdhsa_group_segment_fixed_size 7560
		.amdhsa_private_segment_fixed_size 0
		.amdhsa_kernarg_size 104
		.amdhsa_user_sgpr_count 2
		.amdhsa_user_sgpr_dispatch_ptr 0
		.amdhsa_user_sgpr_queue_ptr 0
		.amdhsa_user_sgpr_kernarg_segment_ptr 1
		.amdhsa_user_sgpr_dispatch_id 0
		.amdhsa_user_sgpr_private_segment_size 0
		.amdhsa_wavefront_size32 1
		.amdhsa_uses_dynamic_stack 0
		.amdhsa_enable_private_segment 0
		.amdhsa_system_sgpr_workgroup_id_x 1
		.amdhsa_system_sgpr_workgroup_id_y 0
		.amdhsa_system_sgpr_workgroup_id_z 0
		.amdhsa_system_sgpr_workgroup_info 0
		.amdhsa_system_vgpr_workitem_id 0
		.amdhsa_next_free_vgpr 240
		.amdhsa_next_free_sgpr 18
		.amdhsa_reserve_vcc 1
		.amdhsa_float_round_mode_32 0
		.amdhsa_float_round_mode_16_64 0
		.amdhsa_float_denorm_mode_32 3
		.amdhsa_float_denorm_mode_16_64 3
		.amdhsa_fp16_overflow 0
		.amdhsa_workgroup_processor_mode 1
		.amdhsa_memory_ordered 1
		.amdhsa_forward_progress 0
		.amdhsa_round_robin_scheduling 0
		.amdhsa_exception_fp_ieee_invalid_op 0
		.amdhsa_exception_fp_denorm_src 0
		.amdhsa_exception_fp_ieee_div_zero 0
		.amdhsa_exception_fp_ieee_overflow 0
		.amdhsa_exception_fp_ieee_underflow 0
		.amdhsa_exception_fp_ieee_inexact 0
		.amdhsa_exception_int_div_zero 0
	.end_amdhsa_kernel
	.text
.Lfunc_end0:
	.size	bluestein_single_fwd_len1890_dim1_half_op_CI_CI, .Lfunc_end0-bluestein_single_fwd_len1890_dim1_half_op_CI_CI
                                        ; -- End function
	.section	.AMDGPU.csdata,"",@progbits
; Kernel info:
; codeLenInByte = 34604
; NumSgprs: 20
; NumVgprs: 240
; ScratchSize: 0
; MemoryBound: 0
; FloatMode: 240
; IeeeMode: 1
; LDSByteSize: 7560 bytes/workgroup (compile time only)
; SGPRBlocks: 2
; VGPRBlocks: 29
; NumSGPRsForWavesPerEU: 20
; NumVGPRsForWavesPerEU: 240
; Occupancy: 6
; WaveLimiterHint : 1
; COMPUTE_PGM_RSRC2:SCRATCH_EN: 0
; COMPUTE_PGM_RSRC2:USER_SGPR: 2
; COMPUTE_PGM_RSRC2:TRAP_HANDLER: 0
; COMPUTE_PGM_RSRC2:TGID_X_EN: 1
; COMPUTE_PGM_RSRC2:TGID_Y_EN: 0
; COMPUTE_PGM_RSRC2:TGID_Z_EN: 0
; COMPUTE_PGM_RSRC2:TIDIG_COMP_CNT: 0
	.text
	.p2alignl 7, 3214868480
	.fill 96, 4, 3214868480
	.type	__hip_cuid_3a79ec6c7c615129,@object ; @__hip_cuid_3a79ec6c7c615129
	.section	.bss,"aw",@nobits
	.globl	__hip_cuid_3a79ec6c7c615129
__hip_cuid_3a79ec6c7c615129:
	.byte	0                               ; 0x0
	.size	__hip_cuid_3a79ec6c7c615129, 1

	.ident	"AMD clang version 19.0.0git (https://github.com/RadeonOpenCompute/llvm-project roc-6.4.0 25133 c7fe45cf4b819c5991fe208aaa96edf142730f1d)"
	.section	".note.GNU-stack","",@progbits
	.addrsig
	.addrsig_sym __hip_cuid_3a79ec6c7c615129
	.amdgpu_metadata
---
amdhsa.kernels:
  - .args:
      - .actual_access:  read_only
        .address_space:  global
        .offset:         0
        .size:           8
        .value_kind:     global_buffer
      - .actual_access:  read_only
        .address_space:  global
        .offset:         8
        .size:           8
        .value_kind:     global_buffer
      - .actual_access:  read_only
        .address_space:  global
        .offset:         16
        .size:           8
        .value_kind:     global_buffer
      - .actual_access:  read_only
        .address_space:  global
        .offset:         24
        .size:           8
        .value_kind:     global_buffer
      - .actual_access:  read_only
        .address_space:  global
        .offset:         32
        .size:           8
        .value_kind:     global_buffer
      - .offset:         40
        .size:           8
        .value_kind:     by_value
      - .address_space:  global
        .offset:         48
        .size:           8
        .value_kind:     global_buffer
      - .address_space:  global
        .offset:         56
        .size:           8
        .value_kind:     global_buffer
      - .address_space:  global
        .offset:         64
        .size:           8
        .value_kind:     global_buffer
      - .address_space:  global
        .offset:         72
        .size:           8
        .value_kind:     global_buffer
      - .offset:         80
        .size:           4
        .value_kind:     by_value
      - .address_space:  global
        .offset:         88
        .size:           8
        .value_kind:     global_buffer
      - .address_space:  global
        .offset:         96
        .size:           8
        .value_kind:     global_buffer
    .group_segment_fixed_size: 7560
    .kernarg_segment_align: 8
    .kernarg_segment_size: 104
    .language:       OpenCL C
    .language_version:
      - 2
      - 0
    .max_flat_workgroup_size: 126
    .name:           bluestein_single_fwd_len1890_dim1_half_op_CI_CI
    .private_segment_fixed_size: 0
    .sgpr_count:     20
    .sgpr_spill_count: 0
    .symbol:         bluestein_single_fwd_len1890_dim1_half_op_CI_CI.kd
    .uniform_work_group_size: 1
    .uses_dynamic_stack: false
    .vgpr_count:     240
    .vgpr_spill_count: 0
    .wavefront_size: 32
    .workgroup_processor_mode: 1
amdhsa.target:   amdgcn-amd-amdhsa--gfx1201
amdhsa.version:
  - 1
  - 2
...

	.end_amdgpu_metadata
